;; amdgpu-corpus repo=ROCm/rocFFT kind=compiled arch=gfx906 opt=O3
	.text
	.amdgcn_target "amdgcn-amd-amdhsa--gfx906"
	.amdhsa_code_object_version 6
	.protected	bluestein_single_back_len440_dim1_sp_op_CI_CI ; -- Begin function bluestein_single_back_len440_dim1_sp_op_CI_CI
	.globl	bluestein_single_back_len440_dim1_sp_op_CI_CI
	.p2align	8
	.type	bluestein_single_back_len440_dim1_sp_op_CI_CI,@function
bluestein_single_back_len440_dim1_sp_op_CI_CI: ; @bluestein_single_back_len440_dim1_sp_op_CI_CI
; %bb.0:
	s_load_dwordx4 s[0:3], s[4:5], 0x28
	v_mul_u32_u24_e32 v1, 0x4a8, v0
	v_add_u32_sdwa v48, s6, v1 dst_sel:DWORD dst_unused:UNUSED_PAD src0_sel:DWORD src1_sel:WORD_1
	v_mov_b32_e32 v49, 0
	s_waitcnt lgkmcnt(0)
	v_cmp_gt_u64_e32 vcc, s[0:1], v[48:49]
	s_and_saveexec_b64 s[0:1], vcc
	s_cbranch_execz .LBB0_23
; %bb.1:
	s_load_dwordx2 s[12:13], s[4:5], 0x0
	s_load_dwordx2 s[14:15], s[4:5], 0x38
	v_mov_b32_e32 v2, 55
	v_mul_lo_u16_sdwa v1, v1, v2 dst_sel:DWORD dst_unused:UNUSED_PAD src0_sel:WORD_1 src1_sel:DWORD
	v_sub_u16_e32 v57, v0, v1
	v_cmp_gt_u16_e32 vcc, 40, v57
	v_lshlrev_b32_e32 v58, 3, v57
	s_and_saveexec_b64 s[6:7], vcc
	s_cbranch_execz .LBB0_3
; %bb.2:
	s_load_dwordx2 s[0:1], s[4:5], 0x18
	v_or_b32_e32 v24, 0x140, v57
	v_mov_b32_e32 v34, 0x280
	s_waitcnt lgkmcnt(0)
	s_load_dwordx4 s[8:11], s[0:1], 0x0
	s_waitcnt lgkmcnt(0)
	v_mad_u64_u32 v[0:1], s[0:1], s10, v48, 0
	v_mad_u64_u32 v[2:3], s[0:1], s8, v57, 0
	s_mul_i32 s10, s9, 0x280
	v_mad_u64_u32 v[4:5], s[0:1], s11, v48, v[1:2]
	v_mad_u64_u32 v[5:6], s[0:1], s9, v57, v[3:4]
	v_mov_b32_e32 v1, v4
	v_lshlrev_b64 v[0:1], 3, v[0:1]
	v_mov_b32_e32 v3, v5
	v_mov_b32_e32 v6, s3
	v_lshlrev_b64 v[2:3], 3, v[2:3]
	v_add_co_u32_e64 v36, s[0:1], s2, v0
	v_addc_co_u32_e64 v37, s[0:1], v6, v1, s[0:1]
	v_add_co_u32_e64 v0, s[0:1], v36, v2
	v_addc_co_u32_e64 v1, s[0:1], v37, v3, s[0:1]
	s_mul_i32 s0, s9, 0x140
	s_mul_hi_u32 s3, s8, 0x140
	s_add_i32 s3, s3, s0
	s_mul_i32 s2, s8, 0x140
	v_mov_b32_e32 v3, s3
	v_add_co_u32_e64 v2, s[0:1], s2, v0
	v_addc_co_u32_e64 v3, s[0:1], v1, v3, s[0:1]
	global_load_dwordx2 v[4:5], v[0:1], off
	global_load_dwordx2 v[6:7], v[2:3], off
	global_load_dwordx2 v[8:9], v58, s[12:13]
	global_load_dwordx2 v[10:11], v58, s[12:13] offset:320
	global_load_dwordx2 v[12:13], v58, s[12:13] offset:640
	;; [unrolled: 1-line block ×7, first 2 shown]
	v_mad_u64_u32 v[0:1], s[0:1], s8, v24, 0
	v_mov_b32_e32 v26, s3
	v_mov_b32_e32 v27, s3
	v_mad_u64_u32 v[24:25], s[0:1], s9, v24, v[1:2]
	v_add_co_u32_e64 v2, s[0:1], s2, v2
	v_addc_co_u32_e64 v3, s[0:1], v3, v26, s[0:1]
	v_mov_b32_e32 v1, v24
	v_add_co_u32_e64 v24, s[0:1], s2, v2
	v_addc_co_u32_e64 v25, s[0:1], v3, v27, s[0:1]
	v_mov_b32_e32 v30, s3
	global_load_dwordx2 v[26:27], v[2:3], off
	global_load_dwordx2 v[28:29], v[24:25], off
	v_add_co_u32_e64 v2, s[0:1], s2, v24
	v_addc_co_u32_e64 v3, s[0:1], v25, v30, s[0:1]
	v_mov_b32_e32 v31, s3
	global_load_dwordx2 v[24:25], v[2:3], off
	v_add_co_u32_e64 v2, s[0:1], s2, v2
	v_addc_co_u32_e64 v3, s[0:1], v3, v31, s[0:1]
	v_mov_b32_e32 v32, s3
	global_load_dwordx2 v[30:31], v[2:3], off
	v_add_co_u32_e64 v2, s[0:1], s2, v2
	v_addc_co_u32_e64 v3, s[0:1], v3, v32, s[0:1]
	v_mov_b32_e32 v35, s3
	global_load_dwordx2 v[32:33], v[2:3], off
	v_add_co_u32_e64 v2, s[0:1], s2, v2
	v_addc_co_u32_e64 v3, s[0:1], v3, v35, s[0:1]
	v_mad_u64_u32 v[34:35], s[0:1], s8, v34, v[2:3]
	v_lshlrev_b64 v[0:1], 3, v[0:1]
	global_load_dwordx2 v[2:3], v[2:3], off
	v_add_co_u32_e64 v0, s[0:1], v36, v0
	v_addc_co_u32_e64 v1, s[0:1], v37, v1, s[0:1]
	v_add_u32_e32 v35, s10, v35
	global_load_dwordx2 v[36:37], v[0:1], off
	global_load_dwordx2 v[38:39], v58, s[12:13] offset:2560
	global_load_dwordx2 v[40:41], v58, s[12:13] offset:2880
	v_mov_b32_e32 v42, s3
	global_load_dwordx2 v[0:1], v[34:35], off
	v_add_co_u32_e64 v34, s[0:1], s2, v34
	v_addc_co_u32_e64 v35, s[0:1], v35, v42, s[0:1]
	global_load_dwordx2 v[42:43], v[34:35], off
	global_load_dwordx2 v[44:45], v58, s[12:13] offset:3200
	s_waitcnt vmcnt(19)
	v_mul_f32_e32 v34, v4, v9
	v_fma_f32 v35, v5, v8, -v34
	v_mul_f32_e32 v34, v5, v9
	v_fmac_f32_e32 v34, v4, v8
	s_waitcnt vmcnt(18)
	v_mul_f32_e32 v4, v7, v11
	v_mul_f32_e32 v5, v6, v11
	v_fmac_f32_e32 v4, v6, v10
	v_fma_f32 v5, v7, v10, -v5
	ds_write2_b64 v58, v[34:35], v[4:5] offset1:40
	s_waitcnt vmcnt(11)
	v_mul_f32_e32 v4, v27, v13
	v_mul_f32_e32 v5, v26, v13
	s_waitcnt vmcnt(10)
	v_mul_f32_e32 v6, v29, v15
	v_mul_f32_e32 v7, v28, v15
	v_fmac_f32_e32 v4, v26, v12
	v_fma_f32 v5, v27, v12, -v5
	v_fmac_f32_e32 v6, v28, v14
	v_fma_f32 v7, v29, v14, -v7
	ds_write2_b64 v58, v[4:5], v[6:7] offset0:80 offset1:120
	s_waitcnt vmcnt(9)
	v_mul_f32_e32 v4, v25, v17
	v_mul_f32_e32 v5, v24, v17
	v_fmac_f32_e32 v4, v24, v16
	v_fma_f32 v5, v25, v16, -v5
	s_waitcnt vmcnt(8)
	v_mul_f32_e32 v6, v31, v19
	v_mul_f32_e32 v7, v30, v19
	v_fmac_f32_e32 v6, v30, v18
	v_fma_f32 v7, v31, v18, -v7
	ds_write2_b64 v58, v[4:5], v[6:7] offset0:160 offset1:200
	s_waitcnt vmcnt(7)
	v_mul_f32_e32 v4, v33, v21
	v_mul_f32_e32 v5, v32, v21
	v_fmac_f32_e32 v4, v32, v20
	v_fma_f32 v5, v33, v20, -v5
	s_waitcnt vmcnt(6)
	v_mul_f32_e32 v6, v3, v23
	v_fmac_f32_e32 v6, v2, v22
	v_mul_f32_e32 v2, v2, v23
	v_fma_f32 v7, v3, v22, -v2
	v_add_u32_e32 v2, 0x400, v58
	ds_write2_b64 v2, v[4:5], v[6:7] offset0:112 offset1:152
	s_waitcnt vmcnt(4)
	v_mul_f32_e32 v2, v37, v39
	v_mul_f32_e32 v3, v36, v39
	v_fmac_f32_e32 v2, v36, v38
	s_waitcnt vmcnt(2)
	v_mul_f32_e32 v4, v1, v41
	v_fmac_f32_e32 v4, v0, v40
	v_mul_f32_e32 v0, v0, v41
	v_fma_f32 v3, v37, v38, -v3
	v_fma_f32 v5, v1, v40, -v0
	v_add_u32_e32 v0, 0x800, v58
	ds_write2_b64 v0, v[2:3], v[4:5] offset0:64 offset1:104
	s_waitcnt vmcnt(0)
	v_mul_f32_e32 v0, v43, v45
	v_mul_f32_e32 v1, v42, v45
	v_fmac_f32_e32 v0, v42, v44
	v_fma_f32 v1, v43, v44, -v1
	ds_write_b64 v58, v[0:1] offset:3200
.LBB0_3:
	s_or_b64 exec, exec, s[6:7]
	s_load_dwordx2 s[0:1], s[4:5], 0x20
	s_load_dwordx2 s[8:9], s[4:5], 0x8
	v_mov_b32_e32 v0, 0
	v_mov_b32_e32 v1, 0
	s_waitcnt lgkmcnt(0)
	; wave barrier
	s_waitcnt lgkmcnt(0)
                                        ; implicit-def: $vgpr6
                                        ; implicit-def: $vgpr16
                                        ; implicit-def: $vgpr20
                                        ; implicit-def: $vgpr14
                                        ; implicit-def: $vgpr10
	s_and_saveexec_b64 s[2:3], vcc
	s_cbranch_execz .LBB0_5
; %bb.4:
	ds_read2_b64 v[0:3], v58 offset1:40
	ds_read2_b64 v[8:11], v58 offset0:80 offset1:120
	ds_read2_b64 v[12:15], v58 offset0:160 offset1:200
	v_add_u32_e32 v4, 0x400, v58
	v_add_u32_e32 v16, 0x800, v58
	ds_read2_b64 v[4:7], v4 offset0:112 offset1:152
	ds_read2_b64 v[16:19], v16 offset0:64 offset1:104
	ds_read_b64 v[20:21], v58 offset:3200
.LBB0_5:
	s_or_b64 exec, exec, s[2:3]
	s_waitcnt lgkmcnt(0)
	v_sub_f32_e32 v41, v3, v21
	v_mul_f32_e32 v26, 0xbf0a6770, v41
	v_add_f32_e32 v22, v20, v2
	v_sub_f32_e32 v47, v2, v20
	v_mov_b32_e32 v24, v26
	v_add_f32_e32 v23, v21, v3
	s_mov_b32 s4, 0x3f575c64
	v_mul_f32_e32 v28, 0xbf0a6770, v47
	v_fmac_f32_e32 v24, 0x3f575c64, v22
	v_sub_f32_e32 v51, v9, v19
	v_add_f32_e32 v27, v24, v0
	v_fma_f32 v24, v23, s4, -v28
	v_mul_f32_e32 v30, 0xbf68dda4, v51
	v_add_f32_e32 v29, v24, v1
	v_add_f32_e32 v24, v18, v8
	v_sub_f32_e32 v52, v8, v18
	v_mov_b32_e32 v31, v30
	s_mov_b32 s5, 0x3ed4b147
	v_add_f32_e32 v25, v19, v9
	v_mul_f32_e32 v32, 0xbf68dda4, v52
	v_fmac_f32_e32 v31, 0x3ed4b147, v24
	v_sub_f32_e32 v55, v11, v17
	v_add_f32_e32 v31, v31, v27
	v_fma_f32 v27, v25, s5, -v32
	v_mul_f32_e32 v34, 0xbf7d64f0, v55
	v_add_f32_e32 v33, v27, v29
	v_add_f32_e32 v27, v16, v10
	v_sub_f32_e32 v62, v10, v16
	v_mov_b32_e32 v35, v34
	s_mov_b32 s6, 0xbe11bafb
	v_add_f32_e32 v29, v17, v11
	v_mul_f32_e32 v36, 0xbf7d64f0, v62
	v_fmac_f32_e32 v35, 0xbe11bafb, v27
	v_sub_f32_e32 v63, v13, v7
	v_add_f32_e32 v35, v35, v31
	v_fma_f32 v31, v29, s6, -v36
	v_mul_f32_e32 v37, 0xbf4178ce, v63
	v_add_f32_e32 v38, v31, v33
	v_add_f32_e32 v31, v6, v12
	v_mov_b32_e32 v33, v37
	v_fmac_f32_e32 v33, 0xbf27a4f4, v31
	v_sub_f32_e32 v70, v12, v6
	v_add_f32_e32 v42, v33, v35
	s_mov_b32 s7, 0xbf27a4f4
	v_add_f32_e32 v33, v7, v13
	v_mul_f32_e32 v39, 0xbf4178ce, v70
	v_sub_f32_e32 v69, v15, v5
	v_fma_f32 v35, v33, s7, -v39
	v_mul_f32_e32 v40, 0xbe903f40, v69
	v_add_f32_e32 v43, v35, v38
	v_add_f32_e32 v35, v4, v14
	v_mov_b32_e32 v38, v40
	v_fmac_f32_e32 v38, 0xbf75a155, v35
	v_sub_f32_e32 v71, v14, v4
	s_mov_b32 s10, 0xbf75a155
	v_add_f32_e32 v49, v38, v42
	v_add_f32_e32 v38, v5, v15
	v_mul_f32_e32 v42, 0xbe903f40, v71
	v_fma_f32 v44, v38, s10, -v42
	v_mul_f32_e32 v53, 0xbf68dda4, v41
	v_add_f32_e32 v50, v44, v43
	v_mov_b32_e32 v43, v53
	v_mul_f32_e32 v54, 0xbf4178ce, v51
	v_fmac_f32_e32 v43, 0x3ed4b147, v22
	v_mov_b32_e32 v44, v54
	v_add_f32_e32 v43, v43, v0
	v_fmac_f32_e32 v44, 0xbf27a4f4, v24
	v_mul_f32_e32 v64, 0xbf68dda4, v47
	v_add_f32_e32 v43, v44, v43
	v_fma_f32 v44, v23, s5, -v64
	v_mul_f32_e32 v65, 0xbf4178ce, v52
	v_add_f32_e32 v44, v44, v1
	v_fma_f32 v45, v25, s7, -v65
	v_mul_f32_e32 v56, 0x3e903f40, v55
	v_add_f32_e32 v44, v45, v44
	v_mov_b32_e32 v45, v56
	v_fmac_f32_e32 v45, 0xbf75a155, v27
	v_mul_f32_e32 v66, 0x3e903f40, v62
	v_add_f32_e32 v43, v45, v43
	v_fma_f32 v45, v29, s10, -v66
	v_mul_f32_e32 v60, 0x3f7d64f0, v63
	v_add_f32_e32 v44, v45, v44
	v_mov_b32_e32 v45, v60
	v_fmac_f32_e32 v45, 0xbe11bafb, v31
	;; [unrolled: 7-line block ×3, first 2 shown]
	v_mul_f32_e32 v68, 0x3f0a6770, v71
	v_add_f32_e32 v45, v45, v43
	v_fma_f32 v43, v38, s4, -v68
	v_mul_f32_e32 v72, 0xbf7d64f0, v41
	v_add_f32_e32 v46, v43, v44
	v_mov_b32_e32 v43, v72
	v_mul_f32_e32 v73, 0x3e903f40, v51
	v_fmac_f32_e32 v43, 0xbe11bafb, v22
	v_mov_b32_e32 v44, v73
	v_add_f32_e32 v43, v43, v0
	v_fmac_f32_e32 v44, 0xbf75a155, v24
	v_mul_f32_e32 v77, 0xbf7d64f0, v47
	v_add_f32_e32 v43, v44, v43
	v_fma_f32 v44, v23, s6, -v77
	v_mul_f32_e32 v78, 0x3e903f40, v52
	v_add_f32_e32 v44, v44, v1
	v_fma_f32 v59, v25, s10, -v78
	v_mul_f32_e32 v74, 0x3f68dda4, v55
	v_add_f32_e32 v44, v59, v44
	v_mov_b32_e32 v59, v74
	v_fmac_f32_e32 v59, 0x3ed4b147, v27
	v_mul_f32_e32 v79, 0x3f68dda4, v62
	v_add_f32_e32 v43, v59, v43
	v_fma_f32 v59, v29, s5, -v79
	v_mul_f32_e32 v75, 0xbf0a6770, v63
	v_add_f32_e32 v44, v59, v44
	v_mov_b32_e32 v59, v75
	v_fmac_f32_e32 v59, 0x3f575c64, v31
	;; [unrolled: 7-line block ×3, first 2 shown]
	v_mul_f32_e32 v81, 0xbf4178ce, v71
	v_add_f32_e32 v43, v59, v43
	v_fma_f32 v59, v38, s7, -v81
	v_add_f32_e32 v44, v59, v44
	v_mul_lo_u16_e32 v59, 11, v57
	s_waitcnt lgkmcnt(0)
	; wave barrier
	s_and_saveexec_b64 s[2:3], vcc
	s_cbranch_execz .LBB0_7
; %bb.6:
	v_mul_f32_e32 v84, 0xbf75a155, v23
	v_mov_b32_e32 v82, v84
	v_mul_f32_e32 v85, 0x3f575c64, v25
	v_fmac_f32_e32 v82, 0x3e903f40, v47
	v_mov_b32_e32 v83, v85
	v_add_f32_e32 v82, v82, v1
	v_fmac_f32_e32 v83, 0xbf0a6770, v52
	v_mul_f32_e32 v86, 0xbf27a4f4, v29
	v_add_f32_e32 v82, v83, v82
	v_mov_b32_e32 v83, v86
	v_fmac_f32_e32 v83, 0x3f4178ce, v62
	v_mul_f32_e32 v87, 0x3ed4b147, v33
	v_add_f32_e32 v82, v83, v82
	v_mov_b32_e32 v83, v87
	;; [unrolled: 4-line block ×3, first 2 shown]
	v_mul_f32_e32 v89, 0x3f0a6770, v51
	v_fmac_f32_e32 v83, 0xbf75a155, v22
	v_mov_b32_e32 v90, v89
	v_add_f32_e32 v83, v83, v0
	v_fmac_f32_e32 v90, 0x3f575c64, v24
	v_add_f32_e32 v83, v90, v83
	v_mul_f32_e32 v90, 0xbf4178ce, v55
	v_mov_b32_e32 v91, v90
	v_fmac_f32_e32 v84, 0xbe903f40, v47
	v_fmac_f32_e32 v91, 0xbf27a4f4, v27
	v_add_f32_e32 v84, v84, v1
	v_fmac_f32_e32 v85, 0x3f0a6770, v52
	v_add_f32_e32 v83, v91, v83
	v_mul_f32_e32 v91, 0x3f68dda4, v63
	v_add_f32_e32 v84, v85, v84
	v_fmac_f32_e32 v86, 0xbf4178ce, v62
	v_fma_f32 v85, v22, s10, -v88
	v_mov_b32_e32 v92, v91
	v_add_f32_e32 v84, v86, v84
	v_add_f32_e32 v85, v85, v0
	v_fma_f32 v86, v24, s4, -v89
	v_fmac_f32_e32 v92, 0x3ed4b147, v31
	v_mul_f32_e32 v93, 0xbe11bafb, v38
	v_fmac_f32_e32 v87, 0x3f68dda4, v70
	v_add_f32_e32 v85, v86, v85
	v_fma_f32 v86, v27, s7, -v90
	v_add_f32_e32 v92, v92, v83
	v_mov_b32_e32 v83, v93
	v_mul_f32_e32 v94, 0xbf7d64f0, v69
	v_add_f32_e32 v84, v87, v84
	v_add_f32_e32 v85, v86, v85
	v_fma_f32 v86, v31, s5, -v91
	v_fmac_f32_e32 v93, 0xbf7d64f0, v71
	v_add_f32_e32 v86, v86, v85
	v_add_f32_e32 v85, v93, v84
	v_fma_f32 v84, v35, s6, -v94
	v_mul_f32_e32 v47, 0xbf4178ce, v47
	v_add_f32_e32 v84, v84, v86
	v_mov_b32_e32 v86, v47
	v_mul_f32_e32 v87, 0x3f7d64f0, v52
	v_fmac_f32_e32 v86, 0xbf27a4f4, v23
	v_mov_b32_e32 v52, v87
	v_add_f32_e32 v86, v86, v1
	v_fmac_f32_e32 v52, 0xbe11bafb, v25
	v_mul_f32_e32 v88, 0xbf4178ce, v41
	v_add_f32_e32 v52, v52, v86
	v_mul_f32_e32 v86, 0xbf0a6770, v62
	v_fma_f32 v41, v22, s7, -v88
	v_mul_f32_e32 v89, 0x3f7d64f0, v51
	v_mov_b32_e32 v62, v86
	v_add_f32_e32 v41, v41, v0
	v_fma_f32 v51, v24, s6, -v89
	v_mul_f32_e32 v55, 0xbf0a6770, v55
	v_fmac_f32_e32 v62, 0x3f575c64, v29
	v_mul_f32_e32 v70, 0xbe903f40, v70
	v_add_f32_e32 v41, v51, v41
	v_fma_f32 v51, v27, s4, -v55
	v_mul_f32_e32 v90, 0xbe903f40, v63
	v_fmac_f32_e32 v83, 0x3f7d64f0, v71
	v_add_f32_e32 v52, v62, v52
	v_mov_b32_e32 v62, v70
	v_add_f32_e32 v41, v51, v41
	v_fma_f32 v51, v31, s10, -v90
	v_mul_f32_e32 v71, 0x3f68dda4, v71
	v_fmac_f32_e32 v62, 0xbf75a155, v33
	v_add_f32_e32 v41, v51, v41
	v_mov_b32_e32 v51, v71
	v_add_f32_e32 v52, v62, v52
	v_fmac_f32_e32 v51, 0x3ed4b147, v38
	v_mul_f32_e32 v69, 0x3f68dda4, v69
	v_add_f32_e32 v52, v51, v52
	v_fma_f32 v51, v35, s5, -v69
	v_add_f32_e32 v51, v51, v41
	v_mul_f32_e32 v41, 0xbe11bafb, v23
	v_mul_f32_e32 v63, 0xbe11bafb, v22
	v_add_f32_e32 v41, v77, v41
	v_mul_f32_e32 v62, 0xbf75a155, v25
	v_sub_f32_e32 v63, v63, v72
	v_mul_f32_e32 v72, 0xbf75a155, v24
	v_add_f32_e32 v62, v78, v62
	v_add_f32_e32 v41, v41, v1
	v_sub_f32_e32 v72, v72, v73
	v_add_f32_e32 v63, v63, v0
	v_add_f32_e32 v41, v62, v41
	v_mul_f32_e32 v62, 0x3ed4b147, v29
	v_add_f32_e32 v63, v72, v63
	v_mul_f32_e32 v72, 0x3ed4b147, v27
	v_add_f32_e32 v62, v79, v62
	v_sub_f32_e32 v72, v72, v74
	v_add_f32_e32 v41, v62, v41
	v_mul_f32_e32 v62, 0x3f575c64, v33
	v_add_f32_e32 v63, v72, v63
	v_mul_f32_e32 v72, 0x3f575c64, v31
	v_add_f32_e32 v62, v80, v62
	v_sub_f32_e32 v72, v72, v75
	;; [unrolled: 6-line block ×3, first 2 shown]
	v_add_f32_e32 v63, v62, v41
	v_add_f32_e32 v62, v73, v72
	v_mul_f32_e32 v72, 0x3ed4b147, v23
	v_add_f32_e32 v64, v64, v72
	v_mul_f32_e32 v72, 0xbf27a4f4, v25
	v_add_f32_e32 v65, v65, v72
	v_add_f32_e32 v64, v64, v1
	;; [unrolled: 1-line block ×3, first 2 shown]
	v_mul_f32_e32 v65, 0xbf75a155, v29
	v_add_f32_e32 v65, v66, v65
	v_add_f32_e32 v64, v65, v64
	v_mul_f32_e32 v65, 0xbe11bafb, v33
	v_add_f32_e32 v65, v67, v65
	v_mul_f32_e32 v72, 0x3ed4b147, v22
	;; [unrolled: 2-line block ×4, first 2 shown]
	v_sub_f32_e32 v53, v72, v53
	v_sub_f32_e32 v54, v68, v54
	v_add_f32_e32 v53, v53, v0
	v_add_f32_e32 v53, v54, v53
	v_mul_f32_e32 v54, 0xbf75a155, v27
	v_sub_f32_e32 v54, v54, v56
	v_mul_f32_e32 v41, 0x3f575c64, v23
	v_add_f32_e32 v53, v54, v53
	v_mul_f32_e32 v54, 0xbe11bafb, v31
	v_add_f32_e32 v2, v2, v0
	v_mul_f32_e32 v67, 0x3ed4b147, v25
	v_sub_f32_e32 v54, v54, v60
	v_add_f32_e32 v28, v28, v41
	v_add_f32_e32 v3, v3, v1
	;; [unrolled: 1-line block ×3, first 2 shown]
	v_mul_f32_e32 v68, 0xbe11bafb, v29
	v_add_f32_e32 v53, v54, v53
	v_mul_f32_e32 v54, 0x3f575c64, v35
	v_add_f32_e32 v28, v28, v1
	v_add_f32_e32 v32, v32, v67
	;; [unrolled: 1-line block ×4, first 2 shown]
	v_mul_f32_e32 v60, 0xbf27a4f4, v33
	v_sub_f32_e32 v61, v54, v61
	v_add_f32_e32 v28, v32, v28
	v_add_f32_e32 v32, v36, v68
	;; [unrolled: 1-line block ×4, first 2 shown]
	v_mul_f32_e32 v74, 0x3f575c64, v22
	v_add_f32_e32 v53, v61, v53
	v_mul_f32_e32 v61, 0xbf75a155, v38
	v_add_f32_e32 v28, v32, v28
	v_add_f32_e32 v32, v39, v60
	;; [unrolled: 1-line block ×4, first 2 shown]
	v_mul_f32_e32 v66, 0x3ed4b147, v24
	v_add_f32_e32 v28, v32, v28
	v_add_f32_e32 v32, v42, v61
	v_sub_f32_e32 v26, v74, v26
	v_add_f32_e32 v3, v15, v3
	v_add_f32_e32 v2, v4, v2
	v_fma_f32 v4, v23, s7, -v47
	v_mul_f32_e32 v72, 0xbe11bafb, v27
	v_add_f32_e32 v41, v32, v28
	v_add_f32_e32 v26, v26, v0
	v_sub_f32_e32 v28, v66, v30
	v_add_f32_e32 v3, v5, v3
	v_add_f32_e32 v1, v4, v1
	v_fma_f32 v4, v25, s6, -v87
	v_fmac_f32_e32 v88, 0xbf27a4f4, v22
	v_mul_f32_e32 v56, 0xbf27a4f4, v31
	v_add_f32_e32 v26, v28, v26
	v_sub_f32_e32 v28, v72, v34
	v_add_f32_e32 v3, v7, v3
	v_add_f32_e32 v2, v6, v2
	v_add_f32_e32 v1, v4, v1
	v_fma_f32 v4, v29, s4, -v86
	v_add_f32_e32 v0, v88, v0
	v_fmac_f32_e32 v89, 0xbe11bafb, v24
	v_mul_f32_e32 v73, 0xbf75a155, v35
	v_add_f32_e32 v26, v28, v26
	v_sub_f32_e32 v28, v56, v37
	v_add_f32_e32 v3, v17, v3
	v_add_f32_e32 v2, v16, v2
	;; [unrolled: 1-line block ×3, first 2 shown]
	v_fma_f32 v4, v33, s10, -v70
	v_add_f32_e32 v0, v89, v0
	v_fmac_f32_e32 v55, 0x3f575c64, v27
	v_add_f32_e32 v83, v83, v82
	v_mov_b32_e32 v82, v94
	v_add_f32_e32 v26, v28, v26
	v_sub_f32_e32 v28, v73, v40
	v_add_f32_e32 v3, v19, v3
	v_add_f32_e32 v2, v18, v2
	;; [unrolled: 1-line block ×3, first 2 shown]
	v_fma_f32 v4, v38, s5, -v71
	v_add_f32_e32 v0, v55, v0
	v_fmac_f32_e32 v90, 0xbf75a155, v31
	v_fmac_f32_e32 v82, 0xbe11bafb, v35
	v_add_f32_e32 v40, v28, v26
	v_add_f32_e32 v3, v21, v3
	;; [unrolled: 1-line block ×5, first 2 shown]
	v_fmac_f32_e32 v69, 0x3ed4b147, v35
	v_lshlrev_b32_e32 v4, 3, v59
	v_add_f32_e32 v82, v82, v92
	v_add_f32_e32 v54, v65, v64
	v_add_f32_e32 v0, v69, v0
	ds_write2_b64 v4, v[2:3], v[40:41] offset1:1
	ds_write2_b64 v4, v[53:54], v[62:63] offset0:2 offset1:3
	ds_write2_b64 v4, v[51:52], v[84:85] offset0:4 offset1:5
	;; [unrolled: 1-line block ×4, first 2 shown]
	ds_write_b64 v4, v[49:50] offset:80
.LBB0_7:
	s_or_b64 exec, exec, s[2:3]
	s_movk_i32 s2, 0x75
	v_mul_lo_u16_sdwa v0, v57, s2 dst_sel:DWORD dst_unused:UNUSED_PAD src0_sel:BYTE_0 src1_sel:DWORD
	v_sub_u16_sdwa v1, v57, v0 dst_sel:DWORD dst_unused:UNUSED_PAD src0_sel:DWORD src1_sel:BYTE_1
	v_lshrrev_b16_e32 v1, 1, v1
	v_and_b32_e32 v1, 0x7f, v1
	v_add_u16_sdwa v0, v1, v0 dst_sel:DWORD dst_unused:UNUSED_PAD src0_sel:DWORD src1_sel:BYTE_1
	v_lshrrev_b16_e32 v32, 3, v0
	v_mul_lo_u16_e32 v0, 11, v32
	v_sub_u16_e32 v0, v57, v0
	v_and_b32_e32 v33, 0xff, v0
	v_mad_u64_u32 v[0:1], s[2:3], v33, 56, s[8:9]
	s_load_dwordx4 s[4:7], s[0:1], 0x0
	s_waitcnt lgkmcnt(0)
	; wave barrier
	s_waitcnt lgkmcnt(0)
	global_load_dwordx4 v[16:19], v[0:1], off
	global_load_dwordx4 v[12:15], v[0:1], off offset:16
	global_load_dwordx4 v[8:11], v[0:1], off offset:32
	global_load_dwordx2 v[51:52], v[0:1], off offset:48
	v_add_u32_e32 v55, 0x400, v58
	v_add_u32_e32 v24, 0x800, v58
	ds_read2_b64 v[0:3], v58 offset1:55
	ds_read2_b64 v[4:7], v58 offset0:110 offset1:165
	ds_read2_b64 v[20:23], v55 offset0:92 offset1:147
	;; [unrolled: 1-line block ×3, first 2 shown]
	s_waitcnt lgkmcnt(0)
	; wave barrier
	s_waitcnt lgkmcnt(0)
	v_cmp_gt_u16_e64 s[0:1], 33, v57
	s_waitcnt vmcnt(3)
	v_mul_f32_e32 v29, v2, v17
	v_mul_f32_e32 v30, v5, v19
	v_mul_f32_e32 v31, v4, v19
	s_waitcnt vmcnt(2)
	v_mul_f32_e32 v35, v6, v13
	v_mul_f32_e32 v36, v21, v15
	v_mul_f32_e32 v37, v20, v15
	;; [unrolled: 4-line block ×3, first 2 shown]
	v_mul_f32_e32 v34, v7, v13
	v_mul_f32_e32 v38, v23, v9
	;; [unrolled: 1-line block ×3, first 2 shown]
	s_waitcnt vmcnt(0)
	v_mul_f32_e32 v42, v27, v52
	v_mul_f32_e32 v47, v26, v52
	v_fmac_f32_e32 v29, v3, v16
	v_fma_f32 v3, v4, v18, -v30
	v_fmac_f32_e32 v31, v5, v18
	v_fmac_f32_e32 v35, v7, v12
	v_fma_f32 v5, v20, v14, -v36
	v_fmac_f32_e32 v37, v21, v14
	v_fma_f32 v7, v24, v10, -v40
	;; [unrolled: 2-line block ×3, first 2 shown]
	v_fma_f32 v4, v6, v12, -v34
	v_fma_f32 v6, v22, v8, -v38
	v_fmac_f32_e32 v39, v23, v8
	v_fma_f32 v20, v26, v51, -v42
	v_fmac_f32_e32 v47, v27, v51
	v_sub_f32_e32 v5, v0, v5
	v_sub_f32_e32 v21, v1, v37
	;; [unrolled: 1-line block ×8, first 2 shown]
	v_fma_f32 v1, v1, 2.0, -v21
	v_fma_f32 v25, v31, 2.0, -v22
	v_sub_f32_e32 v22, v5, v22
	v_add_f32_e32 v34, v21, v7
	v_fma_f32 v0, v0, 2.0, -v5
	v_fma_f32 v3, v3, 2.0, -v7
	;; [unrolled: 1-line block ×6, first 2 shown]
	v_sub_f32_e32 v24, v6, v24
	v_add_f32_e32 v20, v23, v20
	v_sub_f32_e32 v7, v1, v25
	v_fma_f32 v25, v5, 2.0, -v22
	v_fma_f32 v21, v21, 2.0, -v34
	v_mov_b32_e32 v41, v22
	v_sub_f32_e32 v3, v0, v3
	v_sub_f32_e32 v4, v2, v4
	;; [unrolled: 1-line block ×3, first 2 shown]
	v_fma_f32 v6, v6, 2.0, -v24
	v_fma_f32 v23, v23, 2.0, -v20
	v_mov_b32_e32 v28, v25
	v_mov_b32_e32 v29, v21
	v_fmac_f32_e32 v41, 0x3f3504f3, v24
	v_fma_f32 v27, v0, 2.0, -v3
	v_fma_f32 v35, v1, 2.0, -v7
	;; [unrolled: 1-line block ×4, first 2 shown]
	v_fmac_f32_e32 v28, 0xbf3504f3, v6
	v_fmac_f32_e32 v29, 0xbf3504f3, v23
	v_mov_b32_e32 v42, v34
	v_fmac_f32_e32 v41, 0xbf3504f3, v20
	v_sub_f32_e32 v30, v3, v5
	v_add_f32_e32 v31, v7, v4
	v_sub_f32_e32 v0, v27, v0
	v_sub_f32_e32 v1, v35, v1
	v_fmac_f32_e32 v28, 0xbf3504f3, v23
	v_fmac_f32_e32 v29, 0x3f3504f3, v6
	v_fmac_f32_e32 v42, 0x3f3504f3, v20
	v_fma_f32 v20, v22, 2.0, -v41
	v_mul_u32_u24_e32 v22, 0x58, v32
	v_fma_f32 v2, v3, 2.0, -v30
	v_fma_f32 v3, v7, 2.0, -v31
	;; [unrolled: 1-line block ×6, first 2 shown]
	v_fmac_f32_e32 v42, 0x3f3504f3, v24
	v_add_lshl_u32 v60, v22, v33, 3
	v_fma_f32 v21, v34, 2.0, -v42
	ds_write2_b64 v60, v[4:5], v[6:7] offset1:11
	ds_write2_b64 v60, v[2:3], v[20:21] offset0:22 offset1:33
	ds_write2_b64 v60, v[0:1], v[28:29] offset0:44 offset1:55
	;; [unrolled: 1-line block ×3, first 2 shown]
	s_waitcnt lgkmcnt(0)
	; wave barrier
	s_waitcnt lgkmcnt(0)
	ds_read2_b64 v[36:39], v58 offset1:88
	ds_read2_b64 v[32:35], v55 offset0:48 offset1:136
	ds_read_b64 v[53:54], v58 offset:2816
	s_and_saveexec_b64 s[2:3], s[0:1]
	s_cbranch_execz .LBB0_9
; %bb.8:
	ds_read2_b64 v[41:44], v55 offset0:103 offset1:191
	ds_read2_b64 v[28:31], v58 offset0:55 offset1:143
	ds_read_b64 v[45:46], v58 offset:3256
.LBB0_9:
	s_or_b64 exec, exec, s[2:3]
	v_lshlrev_b32_e32 v0, 5, v57
	global_load_dwordx4 v[24:27], v0, s[8:9] offset:616
	global_load_dwordx4 v[20:23], v0, s[8:9] offset:632
	v_add_co_u32_e64 v0, s[2:3], 55, v57
	v_addc_co_u32_e64 v1, s[2:3], 0, 0, s[2:3]
	s_movk_i32 s2, 0xffdf
	v_add_co_u32_e64 v3, s[2:3], s2, v57
	v_addc_co_u32_e64 v4, s[2:3], 0, -1, s[2:3]
	v_cndmask_b32_e64 v1, v4, v1, s[0:1]
	v_cndmask_b32_e64 v0, v3, v0, s[0:1]
	v_lshlrev_b64 v[0:1], 5, v[0:1]
	v_mov_b32_e32 v2, s9
	v_add_co_u32_e64 v61, s[2:3], s8, v0
	v_addc_co_u32_e64 v62, s[2:3], v2, v1, s[2:3]
	global_load_dwordx4 v[4:7], v[61:62], off offset:616
	global_load_dwordx4 v[0:3], v[61:62], off offset:632
	s_waitcnt vmcnt(3) lgkmcnt(2)
	v_mul_f32_e32 v40, v39, v25
	v_mul_f32_e32 v47, v38, v25
	s_waitcnt lgkmcnt(1)
	v_mul_f32_e32 v56, v33, v27
	s_waitcnt vmcnt(2)
	v_mul_f32_e32 v62, v35, v21
	v_mul_f32_e32 v61, v32, v27
	;; [unrolled: 1-line block ×3, first 2 shown]
	s_waitcnt lgkmcnt(0)
	v_mul_f32_e32 v64, v54, v23
	v_fma_f32 v66, v38, v24, -v40
	v_fmac_f32_e32 v47, v39, v24
	v_fma_f32 v39, v32, v26, -v56
	v_fma_f32 v56, v34, v20, -v62
	v_fmac_f32_e32 v61, v33, v26
	v_fmac_f32_e32 v63, v35, v20
	v_fma_f32 v35, v53, v22, -v64
	v_add_f32_e32 v32, v36, v66
	v_add_f32_e32 v33, v39, v56
	;; [unrolled: 1-line block ×3, first 2 shown]
	v_sub_f32_e32 v34, v66, v39
	v_sub_f32_e32 v38, v35, v56
	v_add_f32_e32 v62, v66, v35
	v_sub_f32_e32 v64, v39, v66
	v_sub_f32_e32 v67, v56, v35
	v_add_f32_e32 v69, v61, v63
	v_add_f32_e32 v32, v32, v39
	v_fma_f32 v40, -0.5, v33, v36
	v_add_f32_e32 v33, v68, v61
	s_waitcnt vmcnt(1)
	v_mul_f32_e32 v68, v42, v7
	v_mul_f32_e32 v65, v53, v23
	v_add_f32_e32 v70, v34, v38
	v_fma_f32 v38, -0.5, v62, v36
	v_add_f32_e32 v62, v64, v67
	v_add_f32_e32 v32, v32, v56
	v_mul_f32_e32 v64, v31, v5
	v_mul_f32_e32 v71, v41, v7
	v_fma_f32 v68, v41, v6, -v68
	v_fma_f32 v41, -0.5, v69, v37
	v_fmac_f32_e32 v65, v54, v22
	v_mul_f32_e32 v67, v30, v5
	v_add_f32_e32 v32, v32, v35
	v_fma_f32 v64, v30, v4, -v64
	v_sub_f32_e32 v30, v66, v35
	v_mov_b32_e32 v35, v41
	v_fmac_f32_e32 v67, v31, v4
	v_fmac_f32_e32 v71, v42, v6
	;; [unrolled: 1-line block ×3, first 2 shown]
	v_sub_f32_e32 v31, v39, v56
	v_sub_f32_e32 v39, v47, v61
	;; [unrolled: 1-line block ×3, first 2 shown]
	v_fmac_f32_e32 v41, 0x3f737871, v30
	v_fmac_f32_e32 v35, 0xbf167918, v31
	v_add_f32_e32 v39, v39, v42
	v_fmac_f32_e32 v41, 0x3f167918, v31
	v_fmac_f32_e32 v35, 0x3e9e377a, v39
	;; [unrolled: 1-line block ×3, first 2 shown]
	v_add_f32_e32 v39, v47, v65
	v_fma_f32 v39, -0.5, v39, v37
	v_mov_b32_e32 v37, v39
	v_fmac_f32_e32 v37, 0x3f737871, v31
	v_fmac_f32_e32 v39, 0xbf737871, v31
	s_waitcnt vmcnt(0)
	v_mul_f32_e32 v72, v44, v1
	v_fmac_f32_e32 v37, 0xbf167918, v30
	v_fmac_f32_e32 v39, 0x3f167918, v30
	v_add_f32_e32 v30, v28, v64
	v_mul_f32_e32 v73, v43, v1
	v_mul_f32_e32 v74, v46, v3
	v_fma_f32 v72, v43, v0, -v72
	v_sub_f32_e32 v42, v61, v47
	v_sub_f32_e32 v43, v63, v65
	v_add_f32_e32 v30, v30, v68
	v_mul_f32_e32 v75, v45, v3
	v_fma_f32 v45, v45, v2, -v74
	v_add_f32_e32 v42, v42, v43
	v_add_f32_e32 v30, v30, v72
	v_fmac_f32_e32 v37, 0x3e9e377a, v42
	v_fmac_f32_e32 v39, 0x3e9e377a, v42
	v_add_f32_e32 v42, v30, v45
	v_add_f32_e32 v30, v68, v72
	v_fmac_f32_e32 v75, v46, v2
	v_fma_f32 v30, -0.5, v30, v28
	v_fmac_f32_e32 v73, v44, v0
	v_sub_f32_e32 v31, v67, v75
	v_mov_b32_e32 v44, v30
	v_sub_f32_e32 v53, v47, v65
	v_fmac_f32_e32 v44, 0x3f737871, v31
	v_sub_f32_e32 v43, v71, v73
	v_sub_f32_e32 v46, v64, v68
	;; [unrolled: 1-line block ×3, first 2 shown]
	v_fmac_f32_e32 v30, 0xbf737871, v31
	v_fmac_f32_e32 v44, 0x3f167918, v43
	v_add_f32_e32 v46, v46, v47
	v_fmac_f32_e32 v30, 0xbf167918, v43
	v_fmac_f32_e32 v44, 0x3e9e377a, v46
	;; [unrolled: 1-line block ×3, first 2 shown]
	v_add_f32_e32 v46, v64, v45
	v_fmac_f32_e32 v28, -0.5, v46
	v_mov_b32_e32 v46, v28
	v_fmac_f32_e32 v46, 0xbf737871, v43
	v_fmac_f32_e32 v28, 0x3f737871, v43
	;; [unrolled: 1-line block ×4, first 2 shown]
	v_add_f32_e32 v31, v29, v67
	v_add_f32_e32 v31, v31, v71
	v_sub_f32_e32 v54, v61, v63
	v_mov_b32_e32 v36, v38
	v_add_f32_e32 v31, v31, v73
	v_mov_b32_e32 v34, v40
	v_fmac_f32_e32 v38, 0x3f737871, v54
	v_fmac_f32_e32 v36, 0xbf737871, v54
	v_add_f32_e32 v43, v31, v75
	v_add_f32_e32 v31, v71, v73
	v_fmac_f32_e32 v40, 0xbf737871, v53
	v_fmac_f32_e32 v34, 0x3f737871, v53
	;; [unrolled: 1-line block ×4, first 2 shown]
	v_sub_f32_e32 v47, v68, v64
	v_sub_f32_e32 v53, v72, v45
	v_fma_f32 v31, -0.5, v31, v29
	v_add_f32_e32 v47, v47, v53
	v_sub_f32_e32 v53, v64, v45
	v_mov_b32_e32 v45, v31
	v_fmac_f32_e32 v40, 0xbf167918, v54
	v_fmac_f32_e32 v34, 0x3f167918, v54
	;; [unrolled: 1-line block ×5, first 2 shown]
	v_sub_f32_e32 v54, v68, v72
	v_sub_f32_e32 v47, v67, v71
	;; [unrolled: 1-line block ×3, first 2 shown]
	v_fmac_f32_e32 v31, 0x3f737871, v53
	v_fmac_f32_e32 v45, 0xbf167918, v54
	v_add_f32_e32 v47, v47, v56
	v_fmac_f32_e32 v31, 0x3f167918, v54
	v_fmac_f32_e32 v45, 0x3e9e377a, v47
	v_fmac_f32_e32 v31, 0x3e9e377a, v47
	v_add_f32_e32 v47, v67, v75
	v_fmac_f32_e32 v29, -0.5, v47
	v_mov_b32_e32 v47, v29
	v_fmac_f32_e32 v47, 0x3f737871, v54
	v_sub_f32_e32 v56, v71, v67
	v_sub_f32_e32 v61, v73, v75
	v_fmac_f32_e32 v29, 0xbf737871, v54
	v_add_f32_e32 v33, v33, v63
	v_fmac_f32_e32 v47, 0xbf167918, v53
	v_add_f32_e32 v56, v56, v61
	;; [unrolled: 2-line block ×3, first 2 shown]
	v_fmac_f32_e32 v40, 0x3e9e377a, v70
	v_fmac_f32_e32 v38, 0x3e9e377a, v62
	;; [unrolled: 1-line block ×6, first 2 shown]
	ds_write2_b64 v58, v[32:33], v[34:35] offset1:88
	ds_write2_b64 v55, v[36:37], v[38:39] offset0:48 offset1:136
	ds_write_b64 v58, v[40:41] offset:2816
	s_and_saveexec_b64 s[2:3], s[0:1]
	s_cbranch_execz .LBB0_11
; %bb.10:
	v_add_u32_e32 v53, 0x400, v58
	ds_write2_b64 v58, v[42:43], v[44:45] offset0:55 offset1:143
	ds_write2_b64 v53, v[46:47], v[28:29] offset0:103 offset1:191
	ds_write_b64 v58, v[30:31] offset:3256
.LBB0_11:
	s_or_b64 exec, exec, s[2:3]
	s_waitcnt lgkmcnt(0)
	; wave barrier
	s_waitcnt lgkmcnt(0)
	s_and_saveexec_b64 s[2:3], vcc
	s_cbranch_execz .LBB0_13
; %bb.12:
	global_load_dwordx2 v[53:54], v58, s[12:13] offset:3520
	s_add_u32 s8, s12, 0xdc0
	s_addc_u32 s9, s13, 0
	global_load_dwordx2 v[77:78], v58, s[8:9] offset:320
	global_load_dwordx2 v[79:80], v58, s[8:9] offset:640
	;; [unrolled: 1-line block ×10, first 2 shown]
	ds_read_b64 v[55:56], v58
	v_add_u32_e32 v98, 0x800, v58
	s_waitcnt vmcnt(10) lgkmcnt(0)
	v_mul_f32_e32 v61, v56, v54
	v_mul_f32_e32 v62, v55, v54
	v_fma_f32 v61, v55, v53, -v61
	v_fmac_f32_e32 v62, v56, v53
	ds_write_b64 v58, v[61:62]
	ds_read2_b64 v[53:56], v58 offset0:40 offset1:80
	ds_read2_b64 v[61:64], v58 offset0:120 offset1:160
	ds_read2_b64 v[65:68], v58 offset0:200 offset1:240
	ds_read2_b64 v[69:72], v98 offset0:24 offset1:64
	ds_read2_b64 v[73:76], v98 offset0:104 offset1:144
	s_waitcnt vmcnt(9) lgkmcnt(4)
	v_mul_f32_e32 v99, v54, v78
	v_mul_f32_e32 v97, v53, v78
	s_waitcnt vmcnt(8)
	v_mul_f32_e32 v100, v56, v80
	v_mul_f32_e32 v78, v55, v80
	s_waitcnt vmcnt(7) lgkmcnt(3)
	v_mul_f32_e32 v101, v62, v82
	v_mul_f32_e32 v80, v61, v82
	s_waitcnt vmcnt(6)
	v_mul_f32_e32 v102, v64, v84
	v_mul_f32_e32 v82, v63, v84
	;; [unrolled: 6-line block ×5, first 2 shown]
	v_fma_f32 v96, v53, v77, -v99
	v_fmac_f32_e32 v97, v54, v77
	v_fma_f32 v77, v55, v79, -v100
	v_fmac_f32_e32 v78, v56, v79
	;; [unrolled: 2-line block ×10, first 2 shown]
	ds_write2_b64 v58, v[96:97], v[77:78] offset0:40 offset1:80
	ds_write2_b64 v58, v[79:80], v[81:82] offset0:120 offset1:160
	;; [unrolled: 1-line block ×5, first 2 shown]
.LBB0_13:
	s_or_b64 exec, exec, s[2:3]
	s_waitcnt lgkmcnt(0)
	; wave barrier
	s_waitcnt lgkmcnt(0)
	s_and_saveexec_b64 s[2:3], vcc
	s_cbranch_execz .LBB0_15
; %bb.14:
	v_add_u32_e32 v28, 0x400, v58
	ds_read2_b64 v[32:35], v58 offset1:40
	ds_read2_b64 v[36:39], v58 offset0:80 offset1:120
	ds_read2_b64 v[40:43], v58 offset0:160 offset1:200
	;; [unrolled: 1-line block ×3, first 2 shown]
	v_add_u32_e32 v28, 0x800, v58
	ds_read2_b64 v[28:31], v28 offset0:64 offset1:104
	ds_read_b64 v[49:50], v58 offset:3200
.LBB0_15:
	s_or_b64 exec, exec, s[2:3]
	s_waitcnt lgkmcnt(0)
	v_sub_f32_e32 v71, v35, v50
	v_add_f32_e32 v61, v49, v34
	v_add_f32_e32 v73, v50, v35
	s_mov_b32 s8, 0x3ed4b147
	v_mul_f32_e32 v74, 0xbf68dda4, v71
	v_sub_f32_e32 v72, v37, v31
	v_mul_f32_e32 v77, 0x3ed4b147, v73
	v_fma_f32 v53, v61, s8, -v74
	v_add_f32_e32 v63, v30, v36
	v_add_f32_e32 v76, v31, v37
	s_mov_b32 s10, 0xbf27a4f4
	v_mul_f32_e32 v79, 0xbf4178ce, v72
	v_sub_f32_e32 v62, v34, v49
	v_add_f32_e32 v53, v32, v53
	v_mov_b32_e32 v54, v77
	v_mul_f32_e32 v82, 0xbf27a4f4, v76
	v_fma_f32 v65, v63, s10, -v79
	v_fmac_f32_e32 v54, 0xbf68dda4, v62
	s_mov_b32 s9, 0xbe11bafb
	v_mul_f32_e32 v81, 0xbf7d64f0, v71
	v_sub_f32_e32 v64, v36, v30
	v_add_f32_e32 v53, v65, v53
	v_mov_b32_e32 v65, v82
	v_add_f32_e32 v54, v33, v54
	v_mul_f32_e32 v86, 0xbe11bafb, v73
	v_fma_f32 v55, v61, s9, -v81
	v_fmac_f32_e32 v65, 0xbf4178ce, v64
	s_mov_b32 s11, 0xbf75a155
	v_mul_f32_e32 v87, 0x3e903f40, v72
	v_add_f32_e32 v55, v32, v55
	v_mov_b32_e32 v56, v86
	v_add_f32_e32 v54, v65, v54
	v_mul_f32_e32 v91, 0xbf75a155, v76
	v_fma_f32 v65, v63, s11, -v87
	v_fmac_f32_e32 v56, 0xbf7d64f0, v62
	v_add_f32_e32 v55, v65, v55
	v_mov_b32_e32 v65, v91
	v_add_f32_e32 v56, v33, v56
	v_fmac_f32_e32 v65, 0x3e903f40, v64
	v_sub_f32_e32 v75, v39, v29
	v_add_f32_e32 v56, v65, v56
	v_add_f32_e32 v65, v28, v38
	;; [unrolled: 1-line block ×3, first 2 shown]
	v_mul_f32_e32 v85, 0x3e903f40, v75
	v_mul_f32_e32 v88, 0xbf75a155, v80
	v_fma_f32 v67, v65, s11, -v85
	v_sub_f32_e32 v66, v38, v28
	v_add_f32_e32 v53, v67, v53
	v_mov_b32_e32 v67, v88
	v_fmac_f32_e32 v67, 0x3e903f40, v66
	v_mul_f32_e32 v92, 0x3f68dda4, v75
	v_add_f32_e32 v54, v67, v54
	v_mul_f32_e32 v95, 0x3ed4b147, v80
	v_fma_f32 v67, v65, s8, -v92
	v_add_f32_e32 v55, v67, v55
	v_mov_b32_e32 v67, v95
	v_fmac_f32_e32 v67, 0x3f68dda4, v66
	v_sub_f32_e32 v78, v41, v47
	v_add_f32_e32 v56, v67, v56
	v_add_f32_e32 v67, v46, v40
	;; [unrolled: 1-line block ×3, first 2 shown]
	v_mul_f32_e32 v90, 0x3f7d64f0, v78
	v_mul_f32_e32 v93, 0xbe11bafb, v84
	v_fma_f32 v69, v67, s9, -v90
	v_sub_f32_e32 v68, v40, v46
	v_add_f32_e32 v53, v69, v53
	v_mov_b32_e32 v69, v93
	v_fmac_f32_e32 v69, 0x3f7d64f0, v68
	s_mov_b32 s16, 0x3f575c64
	v_mul_f32_e32 v96, 0xbf0a6770, v78
	v_add_f32_e32 v54, v69, v54
	v_mul_f32_e32 v98, 0x3f575c64, v84
	v_fma_f32 v69, v67, s16, -v96
	v_add_f32_e32 v55, v69, v55
	v_mov_b32_e32 v69, v98
	v_fmac_f32_e32 v69, 0xbf0a6770, v68
	v_sub_f32_e32 v83, v43, v45
	v_add_f32_e32 v56, v69, v56
	v_add_f32_e32 v69, v44, v42
	;; [unrolled: 1-line block ×3, first 2 shown]
	v_mul_f32_e32 v94, 0x3f0a6770, v83
	v_mul_f32_e32 v97, 0x3f575c64, v89
	v_fma_f32 v99, v69, s16, -v94
	v_sub_f32_e32 v70, v42, v44
	v_add_f32_e32 v53, v99, v53
	v_mov_b32_e32 v99, v97
	v_fmac_f32_e32 v99, 0x3f0a6770, v70
	v_add_f32_e32 v54, v99, v54
	v_mul_f32_e32 v99, 0xbf4178ce, v83
	v_mul_f32_e32 v100, 0xbf27a4f4, v89
	v_fma_f32 v101, v69, s10, -v99
	v_add_f32_e32 v55, v101, v55
	v_mov_b32_e32 v101, v100
	v_fmac_f32_e32 v101, 0xbf4178ce, v70
	v_add_f32_e32 v56, v101, v56
	s_waitcnt lgkmcnt(0)
	; wave barrier
	s_and_saveexec_b64 s[2:3], vcc
	s_cbranch_execz .LBB0_17
; %bb.16:
	v_mul_f32_e32 v110, 0xbf7d64f0, v62
	v_mul_f32_e32 v114, 0x3e903f40, v64
	v_sub_f32_e32 v86, v86, v110
	v_mul_f32_e32 v118, 0x3f68dda4, v66
	v_add_f32_e32 v86, v33, v86
	v_sub_f32_e32 v91, v91, v114
	v_mul_f32_e32 v122, 0xbf0a6770, v68
	v_add_f32_e32 v86, v91, v86
	v_sub_f32_e32 v91, v95, v118
	v_mul_f32_e32 v109, 0xbe11bafb, v61
	v_mul_f32_e32 v126, 0xbf4178ce, v70
	;; [unrolled: 1-line block ×3, first 2 shown]
	v_add_f32_e32 v86, v91, v86
	v_sub_f32_e32 v91, v98, v122
	v_mul_f32_e32 v113, 0xbf75a155, v63
	v_mov_b32_e32 v101, v103
	v_mul_f32_e32 v104, 0x3f0a6770, v64
	v_add_f32_e32 v86, v91, v86
	v_sub_f32_e32 v91, v100, v126
	v_add_f32_e32 v81, v109, v81
	v_mul_f32_e32 v117, 0x3ed4b147, v65
	v_fmac_f32_e32 v101, 0xbf75a155, v73
	v_mov_b32_e32 v102, v104
	v_add_f32_e32 v100, v91, v86
	v_add_f32_e32 v81, v32, v81
	;; [unrolled: 1-line block ×3, first 2 shown]
	v_mul_f32_e32 v121, 0x3f575c64, v67
	v_add_f32_e32 v101, v33, v101
	v_fmac_f32_e32 v102, 0x3f575c64, v76
	v_mul_f32_e32 v105, 0xbf4178ce, v66
	v_add_f32_e32 v81, v86, v81
	v_add_f32_e32 v86, v117, v92
	v_mul_f32_e32 v108, 0xbf68dda4, v62
	v_mul_f32_e32 v125, 0xbf27a4f4, v69
	v_add_f32_e32 v101, v102, v101
	v_mov_b32_e32 v102, v105
	v_add_f32_e32 v81, v86, v81
	v_add_f32_e32 v86, v121, v96
	v_mul_f32_e32 v112, 0xbf4178ce, v64
	v_fmac_f32_e32 v102, 0xbf27a4f4, v80
	v_mul_f32_e32 v106, 0x3f68dda4, v68
	v_add_f32_e32 v81, v86, v81
	v_add_f32_e32 v86, v125, v99
	v_sub_f32_e32 v77, v77, v108
	v_mul_f32_e32 v116, 0x3e903f40, v66
	v_add_f32_e32 v101, v102, v101
	v_mov_b32_e32 v102, v106
	v_fma_f32 v103, v73, s11, -v103
	v_add_f32_e32 v99, v86, v81
	v_add_f32_e32 v77, v33, v77
	v_sub_f32_e32 v81, v82, v112
	v_add_f32_e32 v35, v35, v33
	v_mul_f32_e32 v120, 0x3f7d64f0, v68
	v_fmac_f32_e32 v102, 0x3ed4b147, v84
	v_mul_f32_e32 v127, 0xbf7d64f0, v70
	v_add_f32_e32 v103, v33, v103
	v_fma_f32 v104, v76, s16, -v104
	v_add_f32_e32 v77, v81, v77
	v_sub_f32_e32 v81, v88, v116
	v_add_f32_e32 v35, v37, v35
	v_mul_f32_e32 v107, 0x3ed4b147, v61
	v_mul_f32_e32 v124, 0x3f0a6770, v70
	v_add_f32_e32 v101, v102, v101
	v_mov_b32_e32 v102, v127
	v_add_f32_e32 v103, v104, v103
	v_fma_f32 v104, v80, s10, -v105
	v_add_f32_e32 v77, v81, v77
	v_sub_f32_e32 v81, v93, v120
	v_add_f32_e32 v35, v39, v35
	v_mul_f32_e32 v111, 0xbf27a4f4, v63
	v_fmac_f32_e32 v102, 0xbe11bafb, v89
	v_mul_f32_e32 v128, 0xbe903f40, v71
	v_add_f32_e32 v103, v104, v103
	v_fma_f32 v104, v84, s8, -v106
	v_add_f32_e32 v77, v81, v77
	v_sub_f32_e32 v81, v97, v124
	v_add_f32_e32 v74, v107, v74
	v_add_f32_e32 v35, v41, v35
	v_mul_f32_e32 v115, 0xbf75a155, v65
	v_add_f32_e32 v102, v102, v101
	v_fma_f32 v101, v61, s11, -v128
	v_add_f32_e32 v103, v104, v103
	v_fma_f32 v104, v89, s9, -v127
	v_fmac_f32_e32 v128, 0xbf75a155, v61
	v_mul_f32_e32 v127, 0xbf27a4f4, v73
	v_add_f32_e32 v82, v81, v77
	v_add_f32_e32 v74, v32, v74
	;; [unrolled: 1-line block ×4, first 2 shown]
	v_mul_f32_e32 v119, 0xbe11bafb, v67
	v_mul_f32_e32 v129, 0x3f0a6770, v72
	v_add_f32_e32 v104, v104, v103
	v_add_f32_e32 v103, v32, v128
	v_mov_b32_e32 v105, v127
	v_mul_f32_e32 v128, 0xbe11bafb, v76
	v_add_f32_e32 v74, v77, v74
	v_add_f32_e32 v77, v115, v85
	;; [unrolled: 1-line block ×3, first 2 shown]
	v_mul_f32_e32 v123, 0x3f575c64, v69
	v_add_f32_e32 v101, v32, v101
	v_fma_f32 v130, v63, s16, -v129
	v_fmac_f32_e32 v129, 0x3f575c64, v63
	v_fmac_f32_e32 v105, 0x3f4178ce, v62
	v_mov_b32_e32 v106, v128
	v_add_f32_e32 v74, v77, v74
	v_add_f32_e32 v77, v119, v90
	;; [unrolled: 1-line block ×4, first 2 shown]
	v_mul_f32_e32 v130, 0xbf4178ce, v75
	v_add_f32_e32 v103, v129, v103
	v_add_f32_e32 v105, v33, v105
	v_fmac_f32_e32 v106, 0xbf7d64f0, v64
	v_mul_f32_e32 v129, 0x3f575c64, v80
	v_add_f32_e32 v74, v77, v74
	v_add_f32_e32 v77, v123, v94
	;; [unrolled: 1-line block ×3, first 2 shown]
	v_fma_f32 v131, v65, s10, -v130
	v_fmac_f32_e32 v130, 0xbf27a4f4, v65
	v_add_f32_e32 v105, v106, v105
	v_mov_b32_e32 v106, v129
	v_add_f32_e32 v81, v77, v74
	v_mul_f32_e32 v74, 0x3f575c64, v73
	v_add_f32_e32 v29, v31, v29
	v_add_f32_e32 v31, v34, v32
	;; [unrolled: 1-line block ×3, first 2 shown]
	v_mul_f32_e32 v131, 0x3f68dda4, v78
	v_add_f32_e32 v103, v130, v103
	v_fmac_f32_e32 v106, 0x3f0a6770, v66
	v_mul_f32_e32 v130, 0xbf75a155, v84
	v_mov_b32_e32 v73, v74
	v_mul_f32_e32 v76, 0x3ed4b147, v76
	v_add_f32_e32 v31, v36, v31
	v_fma_f32 v132, v67, s8, -v131
	v_fmac_f32_e32 v131, 0x3ed4b147, v67
	v_add_f32_e32 v105, v106, v105
	v_mov_b32_e32 v106, v130
	v_fmac_f32_e32 v73, 0x3f0a6770, v62
	v_mov_b32_e32 v77, v76
	v_add_f32_e32 v31, v38, v31
	v_add_f32_e32 v101, v132, v101
	v_mul_f32_e32 v132, 0xbf7d64f0, v83
	v_add_f32_e32 v103, v131, v103
	v_fmac_f32_e32 v106, 0x3e903f40, v68
	v_mul_f32_e32 v131, 0x3ed4b147, v89
	v_add_f32_e32 v73, v33, v73
	v_fmac_f32_e32 v77, 0x3f68dda4, v64
	v_add_f32_e32 v31, v40, v31
	v_fma_f32 v133, v69, s9, -v132
	v_fmac_f32_e32 v132, 0xbe11bafb, v69
	v_add_f32_e32 v105, v106, v105
	v_mov_b32_e32 v106, v131
	v_add_f32_e32 v73, v77, v73
	v_mul_f32_e32 v77, 0xbe11bafb, v80
	v_add_f32_e32 v31, v42, v31
	v_add_f32_e32 v103, v132, v103
	v_fmac_f32_e32 v106, 0xbf68dda4, v70
	v_mul_f32_e32 v132, 0xbf4178ce, v71
	v_mov_b32_e32 v79, v77
	v_add_f32_e32 v31, v44, v31
	v_add_f32_e32 v101, v133, v101
	;; [unrolled: 1-line block ×3, first 2 shown]
	v_mov_b32_e32 v105, v132
	v_mul_f32_e32 v133, 0x3f7d64f0, v72
	v_fmac_f32_e32 v79, 0x3f7d64f0, v66
	v_add_f32_e32 v31, v46, v31
	v_fmac_f32_e32 v105, 0xbf27a4f4, v61
	v_mov_b32_e32 v134, v133
	v_add_f32_e32 v73, v79, v73
	v_mul_f32_e32 v79, 0xbf27a4f4, v84
	v_add_f32_e32 v28, v28, v31
	v_fmac_f32_e32 v127, 0xbf4178ce, v62
	v_add_f32_e32 v105, v32, v105
	v_fmac_f32_e32 v134, 0xbe11bafb, v63
	v_mov_b32_e32 v80, v79
	v_add_f32_e32 v28, v30, v28
	v_add_f32_e32 v30, v33, v127
	v_fmac_f32_e32 v128, 0x3f7d64f0, v64
	v_add_f32_e32 v105, v134, v105
	v_mul_f32_e32 v134, 0xbf0a6770, v75
	v_fmac_f32_e32 v80, 0x3f4178ce, v68
	v_add_f32_e32 v30, v128, v30
	v_fmac_f32_e32 v129, 0xbf0a6770, v66
	v_mov_b32_e32 v135, v134
	v_add_f32_e32 v73, v80, v73
	v_mul_f32_e32 v80, 0xbf75a155, v89
	v_add_f32_e32 v30, v129, v30
	v_fmac_f32_e32 v130, 0xbe903f40, v68
	v_fmac_f32_e32 v135, 0x3f575c64, v65
	v_mov_b32_e32 v84, v80
	v_add_f32_e32 v30, v130, v30
	v_fmac_f32_e32 v131, 0x3f68dda4, v70
	v_add_f32_e32 v105, v135, v105
	v_mul_f32_e32 v135, 0xbe903f40, v78
	v_fmac_f32_e32 v84, 0x3e903f40, v70
	v_mul_f32_e32 v71, 0xbf0a6770, v71
	v_add_f32_e32 v31, v131, v30
	v_fma_f32 v30, v61, s10, -v132
	v_mov_b32_e32 v136, v135
	v_add_f32_e32 v73, v84, v73
	v_mov_b32_e32 v84, v71
	v_mul_f32_e32 v85, 0xbf68dda4, v72
	v_add_f32_e32 v30, v32, v30
	v_fma_f32 v34, v63, s9, -v133
	v_fmac_f32_e32 v136, 0xbf75a155, v67
	v_fmac_f32_e32 v84, 0x3f575c64, v61
	v_mov_b32_e32 v72, v85
	v_add_f32_e32 v30, v34, v30
	v_fma_f32 v34, v65, s16, -v134
	v_add_f32_e32 v105, v136, v105
	v_mul_f32_e32 v136, 0x3f68dda4, v83
	v_add_f32_e32 v84, v32, v84
	v_fmac_f32_e32 v72, 0x3ed4b147, v63
	v_mul_f32_e32 v75, 0xbf7d64f0, v75
	v_add_f32_e32 v30, v34, v30
	v_fma_f32 v34, v67, s11, -v135
	v_add_f32_e32 v72, v72, v84
	v_mov_b32_e32 v84, v75
	v_add_f32_e32 v30, v34, v30
	v_fma_f32 v34, v69, s8, -v136
	v_fmac_f32_e32 v84, 0xbe11bafb, v65
	v_mul_f32_e32 v78, 0xbf4178ce, v78
	v_add_f32_e32 v30, v34, v30
	v_fma_f32 v34, v61, s16, -v71
	v_add_f32_e32 v72, v84, v72
	v_mov_b32_e32 v84, v78
	v_fmac_f32_e32 v74, 0xbf0a6770, v62
	v_add_f32_e32 v32, v32, v34
	v_fma_f32 v34, v63, s8, -v85
	v_fmac_f32_e32 v84, 0xbf27a4f4, v67
	v_mul_f32_e32 v83, 0xbe903f40, v83
	v_add_f32_e32 v33, v33, v74
	v_fmac_f32_e32 v76, 0xbf68dda4, v64
	v_add_f32_e32 v32, v34, v32
	v_fma_f32 v34, v65, s9, -v75
	v_add_f32_e32 v72, v84, v72
	v_mov_b32_e32 v84, v83
	v_add_f32_e32 v33, v76, v33
	v_fmac_f32_e32 v77, 0xbf7d64f0, v66
	v_add_f32_e32 v32, v34, v32
	v_fma_f32 v34, v67, s10, -v78
	v_mov_b32_e32 v137, v136
	v_fmac_f32_e32 v84, 0xbf75a155, v69
	v_add_f32_e32 v33, v77, v33
	v_fmac_f32_e32 v79, 0xbf4178ce, v68
	v_add_f32_e32 v32, v34, v32
	v_fma_f32 v34, v69, s11, -v83
	v_fmac_f32_e32 v137, 0x3ed4b147, v69
	v_add_f32_e32 v72, v84, v72
	v_add_f32_e32 v29, v50, v29
	;; [unrolled: 1-line block ×4, first 2 shown]
	v_fmac_f32_e32 v80, 0xbe903f40, v70
	v_add_f32_e32 v32, v34, v32
	v_lshlrev_b32_e32 v34, 3, v59
	v_add_f32_e32 v105, v137, v105
	v_add_f32_e32 v33, v80, v33
	ds_write2_b64 v34, v[28:29], v[72:73] offset1:1
	ds_write2_b64 v34, v[81:82], v[99:100] offset0:2 offset1:3
	ds_write2_b64 v34, v[105:106], v[103:104] offset0:4 offset1:5
	;; [unrolled: 1-line block ×4, first 2 shown]
	ds_write_b64 v34, v[32:33] offset:80
.LBB0_17:
	s_or_b64 exec, exec, s[2:3]
	s_waitcnt lgkmcnt(0)
	; wave barrier
	s_waitcnt lgkmcnt(0)
	ds_read2_b64 v[28:31], v58 offset1:55
	ds_read2_b64 v[35:38], v58 offset0:110 offset1:165
	v_add_u32_e32 v34, 0x400, v58
	ds_read2_b64 v[39:42], v34 offset0:92 offset1:147
	v_add_u32_e32 v32, 0x800, v58
	ds_read2_b64 v[43:46], v32 offset0:74 offset1:129
	s_waitcnt lgkmcnt(3)
	v_mul_f32_e32 v32, v17, v31
	v_mul_f32_e32 v17, v17, v30
	v_fmac_f32_e32 v32, v16, v30
	v_fma_f32 v16, v16, v31, -v17
	s_waitcnt lgkmcnt(2)
	v_mul_f32_e32 v17, v19, v36
	v_mul_f32_e32 v19, v19, v35
	v_fmac_f32_e32 v17, v18, v35
	v_fma_f32 v18, v18, v36, -v19
	v_mul_f32_e32 v19, v13, v38
	v_mul_f32_e32 v13, v13, v37
	v_fmac_f32_e32 v19, v12, v37
	v_fma_f32 v12, v12, v38, -v13
	s_waitcnt lgkmcnt(1)
	v_mul_f32_e32 v13, v15, v40
	v_mul_f32_e32 v15, v15, v39
	v_fmac_f32_e32 v13, v14, v39
	v_fma_f32 v14, v14, v40, -v15
	v_mul_f32_e32 v15, v9, v42
	v_mul_f32_e32 v9, v9, v41
	v_fmac_f32_e32 v15, v8, v41
	v_fma_f32 v8, v8, v42, -v9
	s_waitcnt lgkmcnt(0)
	v_mul_f32_e32 v9, v11, v44
	v_mul_f32_e32 v11, v11, v43
	v_fmac_f32_e32 v9, v10, v43
	v_fma_f32 v10, v10, v44, -v11
	v_mul_f32_e32 v11, v52, v46
	v_fmac_f32_e32 v11, v51, v45
	v_sub_f32_e32 v13, v28, v13
	v_sub_f32_e32 v9, v17, v9
	v_mul_f32_e32 v30, v52, v45
	v_fma_f32 v28, v28, 2.0, -v13
	v_fma_f32 v17, v17, 2.0, -v9
	v_sub_f32_e32 v15, v32, v15
	v_sub_f32_e32 v11, v19, v11
	v_fma_f32 v30, v51, v46, -v30
	v_sub_f32_e32 v14, v29, v14
	v_sub_f32_e32 v10, v18, v10
	v_fma_f32 v31, v32, 2.0, -v15
	v_fma_f32 v19, v19, 2.0, -v11
	v_sub_f32_e32 v32, v28, v17
	v_sub_f32_e32 v8, v16, v8
	;; [unrolled: 1-line block ×3, first 2 shown]
	v_fma_f32 v17, v28, 2.0, -v32
	v_add_f32_e32 v35, v13, v10
	v_sub_f32_e32 v36, v14, v9
	v_sub_f32_e32 v28, v31, v19
	v_fma_f32 v29, v29, 2.0, -v14
	v_fma_f32 v18, v18, 2.0, -v10
	;; [unrolled: 1-line block ×7, first 2 shown]
	v_add_f32_e32 v30, v15, v30
	v_sub_f32_e32 v31, v8, v11
	v_sub_f32_e32 v33, v29, v18
	v_sub_f32_e32 v12, v16, v12
	v_fma_f32 v11, v15, 2.0, -v30
	v_fma_f32 v19, v8, 2.0, -v31
	v_sub_f32_e32 v14, v17, v9
	v_mov_b32_e32 v8, v10
	v_mov_b32_e32 v9, v13
	v_fma_f32 v18, v29, 2.0, -v33
	v_fma_f32 v16, v16, 2.0, -v12
	v_fmac_f32_e32 v8, 0xbf3504f3, v11
	v_fmac_f32_e32 v9, 0xbf3504f3, v19
	v_sub_f32_e32 v15, v18, v16
	v_fmac_f32_e32 v8, 0x3f3504f3, v19
	v_fmac_f32_e32 v9, 0xbf3504f3, v11
	v_fma_f32 v16, v17, 2.0, -v14
	v_fma_f32 v17, v18, 2.0, -v15
	;; [unrolled: 1-line block ×4, first 2 shown]
	v_add_f32_e32 v10, v32, v12
	v_mov_b32_e32 v12, v35
	v_mov_b32_e32 v13, v36
	v_fmac_f32_e32 v12, 0x3f3504f3, v30
	v_fmac_f32_e32 v13, 0x3f3504f3, v31
	v_sub_f32_e32 v11, v33, v28
	v_fmac_f32_e32 v12, 0x3f3504f3, v31
	v_fmac_f32_e32 v13, 0xbf3504f3, v30
	v_fma_f32 v28, v32, 2.0, -v10
	v_fma_f32 v29, v33, 2.0, -v11
	;; [unrolled: 1-line block ×4, first 2 shown]
	s_waitcnt lgkmcnt(0)
	; wave barrier
	ds_write2_b64 v60, v[16:17], v[18:19] offset1:11
	ds_write2_b64 v60, v[28:29], v[30:31] offset0:22 offset1:33
	ds_write2_b64 v60, v[14:15], v[8:9] offset0:44 offset1:55
	;; [unrolled: 1-line block ×3, first 2 shown]
	s_waitcnt lgkmcnt(0)
	; wave barrier
	s_waitcnt lgkmcnt(0)
	ds_read2_b64 v[16:19], v58 offset1:88
	ds_read2_b64 v[28:31], v34 offset0:48 offset1:136
	ds_read_b64 v[32:33], v58 offset:2816
	s_and_saveexec_b64 s[2:3], s[0:1]
	s_cbranch_execz .LBB0_19
; %bb.18:
	ds_read2_b64 v[12:15], v34 offset0:103 offset1:191
	ds_read2_b64 v[8:11], v58 offset0:55 offset1:143
	ds_read_b64 v[53:54], v58 offset:3256
	s_waitcnt lgkmcnt(2)
	v_mov_b32_e32 v55, v14
	v_mov_b32_e32 v56, v15
.LBB0_19:
	s_or_b64 exec, exec, s[2:3]
	s_waitcnt lgkmcnt(2)
	v_mul_f32_e32 v35, v25, v19
	v_mul_f32_e32 v14, v25, v18
	v_fmac_f32_e32 v35, v24, v18
	v_fma_f32 v24, v24, v19, -v14
	s_waitcnt lgkmcnt(1)
	v_mul_f32_e32 v25, v27, v29
	v_mul_f32_e32 v14, v27, v28
	;; [unrolled: 1-line block ×3, first 2 shown]
	v_fmac_f32_e32 v25, v26, v28
	v_fma_f32 v26, v26, v29, -v14
	v_fmac_f32_e32 v27, v20, v30
	v_mul_f32_e32 v14, v21, v30
	v_fma_f32 v28, v20, v31, -v14
	s_waitcnt lgkmcnt(0)
	v_mul_f32_e32 v14, v23, v32
	v_add_f32_e32 v15, v25, v27
	v_mul_f32_e32 v21, v23, v33
	v_fma_f32 v29, v22, v33, -v14
	v_fma_f32 v18, -0.5, v15, v16
	v_fmac_f32_e32 v21, v22, v32
	v_sub_f32_e32 v15, v24, v29
	v_mov_b32_e32 v20, v18
	v_fmac_f32_e32 v20, 0xbf737871, v15
	v_sub_f32_e32 v19, v26, v28
	v_sub_f32_e32 v22, v35, v25
	;; [unrolled: 1-line block ×3, first 2 shown]
	v_fmac_f32_e32 v18, 0x3f737871, v15
	v_fmac_f32_e32 v20, 0xbf167918, v19
	v_add_f32_e32 v22, v22, v23
	v_fmac_f32_e32 v18, 0x3f167918, v19
	v_fmac_f32_e32 v20, 0x3e9e377a, v22
	;; [unrolled: 1-line block ×3, first 2 shown]
	v_add_f32_e32 v22, v35, v21
	v_add_f32_e32 v14, v16, v35
	v_fma_f32 v16, -0.5, v22, v16
	v_mov_b32_e32 v22, v16
	v_add_f32_e32 v14, v14, v25
	v_fmac_f32_e32 v22, 0x3f737871, v19
	v_fmac_f32_e32 v16, 0xbf737871, v19
	v_add_f32_e32 v19, v26, v28
	v_add_f32_e32 v14, v14, v27
	v_sub_f32_e32 v23, v25, v35
	v_sub_f32_e32 v30, v27, v21
	v_fma_f32 v19, -0.5, v19, v17
	v_add_f32_e32 v14, v14, v21
	v_fmac_f32_e32 v22, 0xbf167918, v15
	v_add_f32_e32 v23, v23, v30
	v_fmac_f32_e32 v16, 0x3f167918, v15
	v_sub_f32_e32 v30, v35, v21
	v_mov_b32_e32 v21, v19
	v_fmac_f32_e32 v22, 0x3e9e377a, v23
	v_fmac_f32_e32 v16, 0x3e9e377a, v23
	;; [unrolled: 1-line block ×3, first 2 shown]
	v_sub_f32_e32 v25, v25, v27
	v_sub_f32_e32 v23, v24, v26
	;; [unrolled: 1-line block ×3, first 2 shown]
	v_fmac_f32_e32 v19, 0xbf737871, v30
	v_fmac_f32_e32 v21, 0x3f167918, v25
	v_add_f32_e32 v23, v23, v27
	v_fmac_f32_e32 v19, 0xbf167918, v25
	v_fmac_f32_e32 v21, 0x3e9e377a, v23
	;; [unrolled: 1-line block ×3, first 2 shown]
	v_add_f32_e32 v23, v24, v29
	v_add_f32_e32 v15, v17, v24
	v_fma_f32 v17, -0.5, v23, v17
	v_add_f32_e32 v15, v15, v26
	v_mov_b32_e32 v23, v17
	v_add_f32_e32 v15, v15, v28
	v_fmac_f32_e32 v23, 0xbf737871, v25
	v_sub_f32_e32 v24, v26, v24
	v_sub_f32_e32 v26, v28, v29
	v_fmac_f32_e32 v17, 0x3f737871, v25
	v_add_f32_e32 v15, v15, v29
	v_fmac_f32_e32 v23, 0x3f167918, v30
	v_add_f32_e32 v24, v24, v26
	v_fmac_f32_e32 v17, 0xbf167918, v30
	v_fmac_f32_e32 v23, 0x3e9e377a, v24
	;; [unrolled: 1-line block ×3, first 2 shown]
	ds_write2_b64 v58, v[14:15], v[20:21] offset1:88
	ds_write2_b64 v34, v[22:23], v[16:17] offset0:48 offset1:136
	ds_write_b64 v58, v[18:19] offset:2816
	s_and_saveexec_b64 s[2:3], s[0:1]
	s_cbranch_execz .LBB0_21
; %bb.20:
	v_mul_f32_e32 v14, v5, v10
	v_mul_f32_e32 v15, v7, v12
	v_fma_f32 v14, v4, v11, -v14
	v_fma_f32 v15, v6, v13, -v15
	v_mul_f32_e32 v17, v3, v53
	v_mul_f32_e32 v18, v1, v55
	;; [unrolled: 1-line block ×4, first 2 shown]
	v_fma_f32 v17, v2, v54, -v17
	v_fma_f32 v18, v0, v56, -v18
	v_fmac_f32_e32 v13, v6, v12
	v_mul_f32_e32 v6, v1, v56
	v_fmac_f32_e32 v11, v4, v10
	v_add_f32_e32 v4, v14, v9
	v_sub_f32_e32 v16, v14, v15
	v_fmac_f32_e32 v6, v0, v55
	v_mul_f32_e32 v10, v3, v54
	v_add_f32_e32 v0, v15, v18
	v_sub_f32_e32 v22, v15, v18
	v_add_f32_e32 v4, v15, v4
	v_sub_f32_e32 v7, v15, v14
	v_sub_f32_e32 v15, v18, v17
	v_sub_f32_e32 v19, v17, v18
	v_fmac_f32_e32 v10, v2, v53
	v_fma_f32 v1, -0.5, v0, v9
	v_add_f32_e32 v4, v18, v4
	v_add_f32_e32 v15, v15, v7
	;; [unrolled: 1-line block ×4, first 2 shown]
	v_sub_f32_e32 v19, v11, v10
	v_mov_b32_e32 v3, v1
	v_add_f32_e32 v5, v17, v4
	v_add_f32_e32 v4, v8, v11
	v_fmac_f32_e32 v9, -0.5, v7
	v_sub_f32_e32 v12, v13, v6
	v_fmac_f32_e32 v3, 0x3f737871, v19
	v_sub_f32_e32 v0, v11, v13
	v_sub_f32_e32 v2, v10, v6
	v_add_f32_e32 v4, v13, v4
	v_mov_b32_e32 v7, v9
	v_fmac_f32_e32 v1, 0xbf737871, v19
	v_fmac_f32_e32 v3, 0x3f167918, v12
	v_add_f32_e32 v20, v2, v0
	v_add_f32_e32 v0, v13, v6
	v_add_f32_e32 v4, v6, v4
	v_fmac_f32_e32 v7, 0x3f737871, v12
	v_fmac_f32_e32 v9, 0xbf737871, v12
	v_fmac_f32_e32 v1, 0xbf167918, v12
	v_sub_f32_e32 v12, v13, v11
	v_sub_f32_e32 v6, v6, v10
	v_fma_f32 v0, -0.5, v0, v8
	v_add_f32_e32 v12, v6, v12
	v_add_f32_e32 v6, v10, v11
	v_sub_f32_e32 v21, v14, v17
	v_mov_b32_e32 v2, v0
	v_fmac_f32_e32 v8, -0.5, v6
	v_fmac_f32_e32 v2, 0xbf737871, v21
	v_mov_b32_e32 v6, v8
	v_fmac_f32_e32 v2, 0xbf167918, v22
	v_fmac_f32_e32 v6, 0xbf737871, v22
	;; [unrolled: 1-line block ×5, first 2 shown]
	v_add_f32_e32 v4, v10, v4
	v_fmac_f32_e32 v7, 0xbf167918, v19
	v_fmac_f32_e32 v9, 0x3f167918, v19
	;; [unrolled: 1-line block ×10, first 2 shown]
	ds_write2_b64 v58, v[4:5], v[2:3] offset0:55 offset1:143
	v_add_u32_e32 v2, 0x400, v58
	v_fmac_f32_e32 v1, 0x3e9e377a, v16
	v_fmac_f32_e32 v0, 0x3e9e377a, v20
	ds_write2_b64 v2, v[8:9], v[6:7] offset0:103 offset1:191
	ds_write_b64 v58, v[0:1] offset:3256
.LBB0_21:
	s_or_b64 exec, exec, s[2:3]
	s_waitcnt lgkmcnt(0)
	; wave barrier
	s_waitcnt lgkmcnt(0)
	s_and_b64 exec, exec, vcc
	s_cbranch_execz .LBB0_23
; %bb.22:
	global_load_dwordx2 v[8:9], v58, s[12:13]
	global_load_dwordx2 v[10:11], v58, s[12:13] offset:320
	global_load_dwordx2 v[12:13], v58, s[12:13] offset:640
	;; [unrolled: 1-line block ×3, first 2 shown]
	ds_read_b64 v[16:17], v58
	ds_read2_b64 v[0:3], v58 offset0:40 offset1:80
	ds_read2_b64 v[4:7], v58 offset0:120 offset1:160
	global_load_dwordx2 v[22:23], v58, s[12:13] offset:1280
	global_load_dwordx2 v[24:25], v58, s[12:13] offset:1600
	;; [unrolled: 1-line block ×3, first 2 shown]
	v_mad_u64_u32 v[18:19], s[0:1], s6, v48, 0
	v_mad_u64_u32 v[20:21], s[2:3], s4, v57, 0
	s_mul_i32 s3, s5, 0x140
	s_mul_hi_u32 s6, s4, 0x140
	s_add_i32 s3, s6, s3
	v_mad_u64_u32 v[28:29], s[6:7], s7, v48, v[19:20]
	v_mov_b32_e32 v31, s15
	s_mul_i32 s2, s4, 0x140
	v_mov_b32_e32 v19, v28
	v_lshlrev_b64 v[18:19], 3, v[18:19]
	v_mov_b32_e32 v32, s3
	v_add_co_u32_e32 v36, vcc, s14, v18
	v_addc_co_u32_e32 v37, vcc, v31, v19, vcc
	v_mov_b32_e32 v33, s3
	s_mov_b32 s0, 0x29e4129e
	s_mov_b32 s1, 0x3f629e41
	s_waitcnt vmcnt(4) lgkmcnt(1)
	v_mul_f32_e32 v34, v3, v13
	v_mul_f32_e32 v13, v2, v13
	s_waitcnt vmcnt(3) lgkmcnt(0)
	v_mul_f32_e32 v35, v5, v15
	s_waitcnt vmcnt(2)
	v_mad_u64_u32 v[29:30], s[6:7], s5, v57, v[21:22]
	v_mov_b32_e32 v30, s3
	v_mul_f32_e32 v15, v4, v15
	v_mov_b32_e32 v21, v29
	v_lshlrev_b64 v[20:21], 3, v[20:21]
	v_fmac_f32_e32 v34, v2, v12
	v_add_co_u32_e32 v18, vcc, v36, v20
	v_addc_co_u32_e32 v19, vcc, v37, v21, vcc
	v_add_co_u32_e32 v20, vcc, s2, v18
	v_addc_co_u32_e32 v21, vcc, v19, v32, vcc
	;; [unrolled: 2-line block ×3, first 2 shown]
	v_add_co_u32_e32 v30, vcc, s2, v28
	v_mul_f32_e32 v32, v17, v9
	v_mul_f32_e32 v9, v16, v9
	v_addc_co_u32_e32 v31, vcc, v29, v33, vcc
	v_mul_f32_e32 v33, v1, v11
	v_mul_f32_e32 v11, v0, v11
	v_fmac_f32_e32 v32, v16, v8
	v_fma_f32 v16, v8, v17, -v9
	v_fmac_f32_e32 v33, v0, v10
	v_fma_f32 v10, v10, v1, -v11
	v_fma_f32 v17, v12, v3, -v13
	v_cvt_f64_f32_e32 v[0:1], v32
	v_cvt_f64_f32_e32 v[2:3], v16
	global_load_dwordx2 v[8:9], v58, s[12:13] offset:2240
	v_fmac_f32_e32 v35, v4, v14
	v_fma_f32 v38, v14, v5, -v15
	v_cvt_f64_f32_e32 v[4:5], v33
	v_cvt_f64_f32_e32 v[10:11], v10
	;; [unrolled: 1-line block ×4, first 2 shown]
	v_mul_f64 v[0:1], v[0:1], s[0:1]
	v_mul_f64 v[2:3], v[2:3], s[0:1]
	;; [unrolled: 1-line block ×6, first 2 shown]
	v_cvt_f64_f32_e32 v[16:17], v35
	global_load_dwordx2 v[34:35], v58, s[12:13] offset:2560
	v_cvt_f32_f64_e32 v0, v[0:1]
	v_cvt_f32_f64_e32 v1, v[2:3]
	v_cvt_f64_f32_e32 v[32:33], v38
	v_cvt_f32_f64_e32 v2, v[4:5]
	v_cvt_f32_f64_e32 v3, v[10:11]
	;; [unrolled: 1-line block ×4, first 2 shown]
	global_store_dwordx2 v[18:19], v[0:1], off
	global_store_dwordx2 v[20:21], v[2:3], off
	;; [unrolled: 1-line block ×3, first 2 shown]
	v_mul_f32_e32 v0, v7, v23
	v_mul_f64 v[16:17], v[16:17], s[0:1]
	v_mul_f64 v[32:33], v[32:33], s[0:1]
	v_fmac_f32_e32 v0, v6, v22
	v_cvt_f64_f32_e32 v[4:5], v0
	v_mul_f32_e32 v0, v6, v23
	v_fma_f32 v0, v22, v7, -v0
	v_cvt_f64_f32_e32 v[6:7], v0
	ds_read2_b64 v[0:3], v58 offset0:200 offset1:240
	v_mul_f64 v[4:5], v[4:5], s[0:1]
	v_cvt_f32_f64_e32 v10, v[16:17]
	v_mul_f64 v[6:7], v[6:7], s[0:1]
	v_cvt_f32_f64_e32 v11, v[32:33]
	s_waitcnt vmcnt(6) lgkmcnt(0)
	v_mul_f32_e32 v12, v1, v25
	v_fmac_f32_e32 v12, v0, v24
	v_cvt_f64_f32_e32 v[12:13], v12
	global_store_dwordx2 v[30:31], v[10:11], off
	global_load_dwordx2 v[10:11], v58, s[12:13] offset:2880
	v_cvt_f32_f64_e32 v4, v[4:5]
	v_cvt_f32_f64_e32 v5, v[6:7]
	v_mul_f64 v[6:7], v[12:13], s[0:1]
	global_load_dwordx2 v[12:13], v58, s[12:13] offset:3200
	v_mul_f32_e32 v0, v0, v25
	v_fma_f32 v0, v24, v1, -v0
	v_cvt_f64_f32_e32 v[0:1], v0
	v_mov_b32_e32 v15, s3
	v_add_co_u32_e32 v14, vcc, s2, v30
	v_mul_f64 v[0:1], v[0:1], s[0:1]
	v_addc_co_u32_e32 v15, vcc, v31, v15, vcc
	global_store_dwordx2 v[14:15], v[4:5], off
	v_cvt_f32_f64_e32 v4, v[6:7]
	v_add_u32_e32 v19, 0x800, v58
	v_mov_b32_e32 v18, s3
	v_add_co_u32_e32 v14, vcc, s2, v14
	v_cvt_f32_f64_e32 v5, v[0:1]
	s_waitcnt vmcnt(9)
	v_mul_f32_e32 v0, v3, v27
	v_fmac_f32_e32 v0, v2, v26
	v_cvt_f64_f32_e32 v[6:7], v0
	v_mul_f32_e32 v0, v2, v27
	v_fma_f32 v0, v26, v3, -v0
	v_cvt_f64_f32_e32 v[16:17], v0
	ds_read2_b64 v[0:3], v19 offset0:24 offset1:64
	v_addc_co_u32_e32 v15, vcc, v15, v18, vcc
	global_store_dwordx2 v[14:15], v[4:5], off
	v_mul_f64 v[4:5], v[6:7], s[0:1]
	v_mul_f64 v[6:7], v[16:17], s[0:1]
	v_or_b32_e32 v20, 0x140, v57
	s_waitcnt vmcnt(9) lgkmcnt(0)
	v_mul_f32_e32 v16, v1, v9
	v_fmac_f32_e32 v16, v0, v8
	v_mul_f32_e32 v0, v0, v9
	v_fma_f32 v0, v8, v1, -v0
	v_cvt_f64_f32_e32 v[0:1], v0
	v_cvt_f64_f32_e32 v[16:17], v16
	v_cvt_f32_f64_e32 v4, v[4:5]
	v_cvt_f32_f64_e32 v5, v[6:7]
	v_mul_f64 v[0:1], v[0:1], s[0:1]
	v_mul_f64 v[6:7], v[16:17], s[0:1]
	v_mov_b32_e32 v9, s3
	v_add_co_u32_e32 v8, vcc, s2, v14
	v_addc_co_u32_e32 v9, vcc, v15, v9, vcc
	global_store_dwordx2 v[8:9], v[4:5], off
	v_cvt_f32_f64_e32 v5, v[0:1]
	s_waitcnt vmcnt(9)
	v_mul_f32_e32 v0, v3, v35
	v_fmac_f32_e32 v0, v2, v34
	v_mul_f32_e32 v2, v2, v35
	v_fma_f32 v2, v34, v3, -v2
	v_cvt_f64_f32_e32 v[0:1], v0
	v_cvt_f64_f32_e32 v[2:3], v2
	v_mad_u64_u32 v[16:17], s[6:7], s4, v20, 0
	v_cvt_f32_f64_e32 v4, v[6:7]
	v_add_co_u32_e32 v8, vcc, s2, v8
	v_mul_f64 v[6:7], v[0:1], s[0:1]
	v_mul_f64 v[14:15], v[2:3], s[0:1]
	v_addc_co_u32_e32 v9, vcc, v9, v18, vcc
	v_mov_b32_e32 v0, v17
	global_store_dwordx2 v[8:9], v[4:5], off
	v_mad_u64_u32 v[4:5], s[6:7], s5, v20, v[0:1]
	ds_read2_b64 v[0:3], v19 offset0:104 offset1:144
	v_cvt_f32_f64_e32 v5, v[6:7]
	v_mov_b32_e32 v17, v4
	v_cvt_f32_f64_e32 v6, v[14:15]
	v_lshlrev_b64 v[14:15], 3, v[16:17]
	s_waitcnt vmcnt(5) lgkmcnt(0)
	v_mul_f32_e32 v4, v1, v11
	v_fmac_f32_e32 v4, v0, v10
	v_cvt_f64_f32_e32 v[16:17], v4
	v_mul_f32_e32 v0, v0, v11
	s_waitcnt vmcnt(4)
	v_mul_f32_e32 v4, v3, v13
	v_fmac_f32_e32 v4, v2, v12
	v_mul_f32_e32 v2, v2, v13
	v_fma_f32 v0, v10, v1, -v0
	v_add_co_u32_e32 v10, vcc, v36, v14
	v_fma_f32 v2, v12, v3, -v2
	v_cvt_f64_f32_e32 v[0:1], v0
	v_addc_co_u32_e32 v11, vcc, v37, v15, vcc
	v_mul_f64 v[14:15], v[16:17], s[0:1]
	v_cvt_f64_f32_e32 v[16:17], v4
	v_cvt_f64_f32_e32 v[2:3], v2
	v_mul_f64 v[0:1], v[0:1], s[0:1]
	v_mov_b32_e32 v4, 0x280
	v_mul_f64 v[12:13], v[16:17], s[0:1]
	v_mul_f64 v[2:3], v[2:3], s[0:1]
	global_store_dwordx2 v[10:11], v[5:6], off
	v_cvt_f32_f64_e32 v7, v[14:15]
	v_mad_u64_u32 v[14:15], s[0:1], s4, v4, v[8:9]
	v_cvt_f32_f64_e32 v8, v[0:1]
	s_mul_i32 s0, s5, 0x280
	v_cvt_f32_f64_e32 v0, v[12:13]
	v_cvt_f32_f64_e32 v1, v[2:3]
	v_add_u32_e32 v15, s0, v15
	v_mov_b32_e32 v3, s3
	v_add_co_u32_e32 v2, vcc, s2, v14
	v_addc_co_u32_e32 v3, vcc, v15, v3, vcc
	global_store_dwordx2 v[14:15], v[7:8], off
	global_store_dwordx2 v[2:3], v[0:1], off
.LBB0_23:
	s_endpgm
	.section	.rodata,"a",@progbits
	.p2align	6, 0x0
	.amdhsa_kernel bluestein_single_back_len440_dim1_sp_op_CI_CI
		.amdhsa_group_segment_fixed_size 3520
		.amdhsa_private_segment_fixed_size 0
		.amdhsa_kernarg_size 104
		.amdhsa_user_sgpr_count 6
		.amdhsa_user_sgpr_private_segment_buffer 1
		.amdhsa_user_sgpr_dispatch_ptr 0
		.amdhsa_user_sgpr_queue_ptr 0
		.amdhsa_user_sgpr_kernarg_segment_ptr 1
		.amdhsa_user_sgpr_dispatch_id 0
		.amdhsa_user_sgpr_flat_scratch_init 0
		.amdhsa_user_sgpr_private_segment_size 0
		.amdhsa_uses_dynamic_stack 0
		.amdhsa_system_sgpr_private_segment_wavefront_offset 0
		.amdhsa_system_sgpr_workgroup_id_x 1
		.amdhsa_system_sgpr_workgroup_id_y 0
		.amdhsa_system_sgpr_workgroup_id_z 0
		.amdhsa_system_sgpr_workgroup_info 0
		.amdhsa_system_vgpr_workitem_id 0
		.amdhsa_next_free_vgpr 138
		.amdhsa_next_free_sgpr 17
		.amdhsa_reserve_vcc 1
		.amdhsa_reserve_flat_scratch 0
		.amdhsa_float_round_mode_32 0
		.amdhsa_float_round_mode_16_64 0
		.amdhsa_float_denorm_mode_32 3
		.amdhsa_float_denorm_mode_16_64 3
		.amdhsa_dx10_clamp 1
		.amdhsa_ieee_mode 1
		.amdhsa_fp16_overflow 0
		.amdhsa_exception_fp_ieee_invalid_op 0
		.amdhsa_exception_fp_denorm_src 0
		.amdhsa_exception_fp_ieee_div_zero 0
		.amdhsa_exception_fp_ieee_overflow 0
		.amdhsa_exception_fp_ieee_underflow 0
		.amdhsa_exception_fp_ieee_inexact 0
		.amdhsa_exception_int_div_zero 0
	.end_amdhsa_kernel
	.text
.Lfunc_end0:
	.size	bluestein_single_back_len440_dim1_sp_op_CI_CI, .Lfunc_end0-bluestein_single_back_len440_dim1_sp_op_CI_CI
                                        ; -- End function
	.section	.AMDGPU.csdata,"",@progbits
; Kernel info:
; codeLenInByte = 10504
; NumSgprs: 21
; NumVgprs: 138
; ScratchSize: 0
; MemoryBound: 0
; FloatMode: 240
; IeeeMode: 1
; LDSByteSize: 3520 bytes/workgroup (compile time only)
; SGPRBlocks: 2
; VGPRBlocks: 34
; NumSGPRsForWavesPerEU: 21
; NumVGPRsForWavesPerEU: 138
; Occupancy: 1
; WaveLimiterHint : 1
; COMPUTE_PGM_RSRC2:SCRATCH_EN: 0
; COMPUTE_PGM_RSRC2:USER_SGPR: 6
; COMPUTE_PGM_RSRC2:TRAP_HANDLER: 0
; COMPUTE_PGM_RSRC2:TGID_X_EN: 1
; COMPUTE_PGM_RSRC2:TGID_Y_EN: 0
; COMPUTE_PGM_RSRC2:TGID_Z_EN: 0
; COMPUTE_PGM_RSRC2:TIDIG_COMP_CNT: 0
	.type	__hip_cuid_8c76d7cf7cf0d923,@object ; @__hip_cuid_8c76d7cf7cf0d923
	.section	.bss,"aw",@nobits
	.globl	__hip_cuid_8c76d7cf7cf0d923
__hip_cuid_8c76d7cf7cf0d923:
	.byte	0                               ; 0x0
	.size	__hip_cuid_8c76d7cf7cf0d923, 1

	.ident	"AMD clang version 19.0.0git (https://github.com/RadeonOpenCompute/llvm-project roc-6.4.0 25133 c7fe45cf4b819c5991fe208aaa96edf142730f1d)"
	.section	".note.GNU-stack","",@progbits
	.addrsig
	.addrsig_sym __hip_cuid_8c76d7cf7cf0d923
	.amdgpu_metadata
---
amdhsa.kernels:
  - .args:
      - .actual_access:  read_only
        .address_space:  global
        .offset:         0
        .size:           8
        .value_kind:     global_buffer
      - .actual_access:  read_only
        .address_space:  global
        .offset:         8
        .size:           8
        .value_kind:     global_buffer
      - .actual_access:  read_only
        .address_space:  global
        .offset:         16
        .size:           8
        .value_kind:     global_buffer
      - .actual_access:  read_only
        .address_space:  global
        .offset:         24
        .size:           8
        .value_kind:     global_buffer
      - .actual_access:  read_only
        .address_space:  global
        .offset:         32
        .size:           8
        .value_kind:     global_buffer
      - .offset:         40
        .size:           8
        .value_kind:     by_value
      - .address_space:  global
        .offset:         48
        .size:           8
        .value_kind:     global_buffer
      - .address_space:  global
        .offset:         56
        .size:           8
        .value_kind:     global_buffer
      - .address_space:  global
        .offset:         64
        .size:           8
        .value_kind:     global_buffer
      - .address_space:  global
        .offset:         72
        .size:           8
        .value_kind:     global_buffer
      - .offset:         80
        .size:           4
        .value_kind:     by_value
      - .address_space:  global
        .offset:         88
        .size:           8
        .value_kind:     global_buffer
      - .address_space:  global
        .offset:         96
        .size:           8
        .value_kind:     global_buffer
    .group_segment_fixed_size: 3520
    .kernarg_segment_align: 8
    .kernarg_segment_size: 104
    .language:       OpenCL C
    .language_version:
      - 2
      - 0
    .max_flat_workgroup_size: 55
    .name:           bluestein_single_back_len440_dim1_sp_op_CI_CI
    .private_segment_fixed_size: 0
    .sgpr_count:     21
    .sgpr_spill_count: 0
    .symbol:         bluestein_single_back_len440_dim1_sp_op_CI_CI.kd
    .uniform_work_group_size: 1
    .uses_dynamic_stack: false
    .vgpr_count:     138
    .vgpr_spill_count: 0
    .wavefront_size: 64
amdhsa.target:   amdgcn-amd-amdhsa--gfx906
amdhsa.version:
  - 1
  - 2
...

	.end_amdgpu_metadata
